;; amdgpu-corpus repo=ROCm/rocBLAS kind=compiled arch=gfx1201 opt=O3
	.amdgcn_target "amdgcn-amd-amdhsa--gfx1201"
	.amdhsa_code_object_version 6
	.section	.text._ZL18rocblas_hpr_kernelILi64ELi16ELi2EPKfPK19rocblas_complex_numIfEPS3_EvbiT2_T3_lllT4_lli,"axG",@progbits,_ZL18rocblas_hpr_kernelILi64ELi16ELi2EPKfPK19rocblas_complex_numIfEPS3_EvbiT2_T3_lllT4_lli,comdat
	.globl	_ZL18rocblas_hpr_kernelILi64ELi16ELi2EPKfPK19rocblas_complex_numIfEPS3_EvbiT2_T3_lllT4_lli ; -- Begin function _ZL18rocblas_hpr_kernelILi64ELi16ELi2EPKfPK19rocblas_complex_numIfEPS3_EvbiT2_T3_lllT4_lli
	.p2align	8
	.type	_ZL18rocblas_hpr_kernelILi64ELi16ELi2EPKfPK19rocblas_complex_numIfEPS3_EvbiT2_T3_lllT4_lli,@function
_ZL18rocblas_hpr_kernelILi64ELi16ELi2EPKfPK19rocblas_complex_numIfEPS3_EvbiT2_T3_lllT4_lli: ; @_ZL18rocblas_hpr_kernelILi64ELi16ELi2EPKfPK19rocblas_complex_numIfEPS3_EvbiT2_T3_lllT4_lli
; %bb.0:
	s_load_b512 s[4:19], s[0:1], 0x8
	s_wait_kmcnt 0x0
	s_load_b32 s22, s[4:5], 0x0
	s_wait_kmcnt 0x0
	s_cmp_eq_f32 s22, 0
	s_cbranch_scc1 .LBB0_24
; %bb.1:
	s_load_b32 s23, s[0:1], 0x48
	s_lshr_b32 s20, ttmp7, 16
	s_wait_kmcnt 0x0
	s_cmp_ge_u32 s20, s23
	s_cbranch_scc1 .LBB0_24
; %bb.2:
	s_load_b64 s[4:5], s[0:1], 0x0
	s_lshl_b64 s[0:1], s[8:9], 3
	s_lshl_b64 s[2:3], s[16:17], 3
	s_add_nc_u64 s[16:17], s[6:7], s[0:1]
	s_add_nc_u64 s[14:15], s[14:15], s[2:3]
	s_mov_b32 s21, 0
	s_wait_kmcnt 0x0
	s_bitcmp1_b32 s4, 0
	s_cselect_b32 vcc_lo, -1, 0
	v_and_b32_e32 v1, 0x3ff, v0
	v_bfe_u32 v0, v0, 10, 10
	s_and_b32 s0, ttmp7, 0xffff
	s_lshl_b32 s1, s5, 1
	s_xor_b32 s24, vcc_lo, -1
	v_lshl_add_u32 v9, ttmp9, 7, v1
	v_mov_b32_e32 v1, 0
	v_lshl_add_u32 v0, s0, 4, v0
	s_delay_alu instid0(VALU_DEP_3) | instskip(SKIP_3) | instid1(VALU_DEP_4)
	v_add_nc_u32_e32 v10, 64, v9
	v_ashrrev_i32_e32 v4, 31, v9
	v_mul_lo_u32 v6, s11, v9
	v_mad_co_u64_u32 v[2:3], null, s10, v9, 0
	v_ashrrev_i32_e32 v8, 31, v10
	s_delay_alu instid0(VALU_DEP_4) | instskip(SKIP_2) | instid1(VALU_DEP_4)
	v_mul_lo_u32 v7, s10, v4
	v_mul_lo_u32 v11, s11, v10
	v_mad_co_u64_u32 v[4:5], null, s10, v10, 0
	v_mul_lo_u32 v12, s10, v8
	v_sub_nc_u32_e32 v8, s1, v0
	v_ashrrev_i32_e32 v13, 31, v0
	v_cmp_gt_i32_e64 s0, s5, v9
	v_add3_u32 v3, v3, v7, v6
	v_mad_co_u64_u32 v[6:7], null, v0, v0, v[0:1]
	v_mad_co_u64_u32 v[7:8], null, v0, v8, v[0:1]
	v_add3_u32 v5, v5, v12, v11
	v_sub_nc_u32_e32 v8, v9, v0
	v_cmp_le_i32_e64 s1, s5, v9
	v_cmp_gt_i32_e64 s2, s5, v10
	v_lshrrev_b32_e32 v11, 31, v6
	v_cmp_le_i32_e64 s3, s5, v0
	v_lshrrev_b32_e32 v12, 31, v7
	v_cmp_gt_i32_e64 s4, s5, v0
	v_cmp_le_i32_e64 s5, v9, v0
	v_add_nc_u32_e32 v11, v6, v11
	v_cmp_lt_i32_e64 s6, v9, v0
	v_add_nc_u32_e32 v12, v7, v12
	v_cmp_eq_u32_e64 s7, v9, v0
	v_mul_lo_u32 v14, s11, v0
	v_ashrrev_i32_e32 v11, 1, v11
	v_mad_co_u64_u32 v[6:7], null, s10, v0, 0
	v_ashrrev_i32_e32 v12, 1, v12
	v_cmp_lt_i32_e64 s8, v0, v10
	s_delay_alu instid0(VALU_DEP_4)
	v_add_nc_u32_e32 v9, v11, v9
	v_mul_lo_u32 v11, s10, v13
	v_cmp_ge_i32_e64 s9, v10, v0
	v_add_nc_u32_e32 v8, v8, v12
	v_cmp_eq_u32_e64 s10, v10, v0
	v_lshlrev_b64_e32 v[2:3], 3, v[2:3]
	v_lshlrev_b64_e32 v[4:5], 3, v[4:5]
	s_and_b32 s4, s6, s4
	v_cndmask_b32_e32 v8, v8, v9, vcc_lo
	v_add3_u32 v7, v7, v11, v14
	s_and_b32 s6, s7, s0
	s_and_b32 s7, s2, s8
	s_or_b32 s5, s5, s1
	v_ashrrev_i32_e32 v9, 31, v8
	v_lshlrev_b64_e32 v[6:7], 3, v[6:7]
	s_wait_alu 0xfffe
	s_xor_b32 s8, s4, -1
	s_xor_b32 s11, s7, -1
	s_or_b32 s9, s3, s9
	v_lshlrev_b64_e32 v[8:9], 3, v[8:9]
	s_and_b32 s10, s10, s2
	s_branch .LBB0_4
.LBB0_3:                                ;   in Loop: Header=BB0_4 Depth=1
	s_or_b32 exec_lo, exec_lo, s26
	s_add_co_i32 s20, s20, 0x10000
	s_delay_alu instid0(SALU_CYCLE_1)
	s_cmp_lt_u32 s20, s23
	s_cbranch_scc0 .LBB0_24
.LBB0_4:                                ; =>This Inner Loop Header: Depth=1
	s_and_b32 vcc_lo, exec_lo, s24
	s_mov_b32 s26, 0
	s_mov_b32 s25, 0
	s_mov_b32 s0, -1
	s_wait_alu 0xfffe
	s_cbranch_vccz .LBB0_6
; %bb.5:                                ;   in Loop: Header=BB0_4 Depth=1
	s_mov_b32 s0, 0
	s_mov_b32 s25, -1
	s_and_b32 s26, s5, exec_lo
.LBB0_6:                                ;   in Loop: Header=BB0_4 Depth=1
	s_wait_alu 0xfffe
	s_and_not1_b32 vcc_lo, exec_lo, s0
	s_wait_alu 0xfffe
	s_cbranch_vccnz .LBB0_8
; %bb.7:                                ;   in Loop: Header=BB0_4 Depth=1
	s_and_not1_b32 s0, s25, exec_lo
	s_and_b32 s1, s4, exec_lo
	s_and_not1_b32 s2, s26, exec_lo
	s_and_b32 s3, s8, exec_lo
	s_wait_alu 0xfffe
	s_or_b32 s25, s0, s1
	s_or_b32 s26, s2, s3
.LBB0_8:                                ;   in Loop: Header=BB0_4 Depth=1
	s_mul_u64 s[0:1], s[12:13], s[20:21]
	s_mul_u64 s[2:3], s[18:19], s[20:21]
	s_wait_alu 0xfffe
	s_lshl_b64 s[0:1], s[0:1], 3
	s_lshl_b64 s[28:29], s[2:3], 3
	s_wait_alu 0xfffe
	s_add_nc_u64 s[2:3], s[16:17], s[0:1]
	s_add_nc_u64 s[0:1], s[14:15], s[28:29]
	s_and_saveexec_b32 s27, s26
	s_delay_alu instid0(SALU_CYCLE_1)
	s_xor_b32 s26, exec_lo, s27
	s_cbranch_execz .LBB0_12
; %bb.9:                                ;   in Loop: Header=BB0_4 Depth=1
	s_and_saveexec_b32 s27, s6
	s_cbranch_execz .LBB0_11
; %bb.10:                               ;   in Loop: Header=BB0_4 Depth=1
	s_wait_alu 0xfffe
	v_add_co_u32 v10, vcc_lo, s2, v2
	s_wait_alu 0xfffd
	v_add_co_ci_u32_e64 v11, null, s3, v3, vcc_lo
	v_add_co_u32 v12, vcc_lo, s0, v8
	s_wait_alu 0xfffd
	v_add_co_ci_u32_e64 v13, null, s1, v9, vcc_lo
	global_load_b64 v[10:11], v[10:11], off
	global_load_b32 v0, v[12:13], off
	s_wait_loadcnt 0x1
	v_mul_f32_e32 v11, v11, v11
	s_delay_alu instid0(VALU_DEP_1) | instskip(SKIP_1) | instid1(VALU_DEP_1)
	v_fmac_f32_e32 v11, v10, v10
	s_wait_loadcnt 0x0
	v_fmac_f32_e32 v0, s22, v11
	global_store_b64 v[12:13], v[0:1], off
.LBB0_11:                               ;   in Loop: Header=BB0_4 Depth=1
	s_or_b32 exec_lo, exec_lo, s27
	s_delay_alu instid0(SALU_CYCLE_1)
	s_and_not1_b32 s25, s25, exec_lo
.LBB0_12:                               ;   in Loop: Header=BB0_4 Depth=1
	s_or_b32 exec_lo, exec_lo, s26
	s_wait_alu 0xfffe
	v_add_co_u32 v10, vcc_lo, s2, v6
	s_wait_alu 0xfffd
	v_add_co_ci_u32_e64 v11, null, s3, v7, vcc_lo
	s_and_saveexec_b32 s26, s25
	s_cbranch_execz .LBB0_14
; %bb.13:                               ;   in Loop: Header=BB0_4 Depth=1
	v_add_co_u32 v12, vcc_lo, s2, v2
	s_wait_alu 0xfffd
	v_add_co_ci_u32_e64 v13, null, s3, v3, vcc_lo
	v_add_co_u32 v16, vcc_lo, s0, v8
	s_wait_alu 0xfffd
	v_add_co_ci_u32_e64 v17, null, s1, v9, vcc_lo
	s_clause 0x1
	global_load_b64 v[12:13], v[12:13], off
	global_load_b64 v[14:15], v[10:11], off
	;; [unrolled: 1-line block ×3, first 2 shown]
	s_wait_loadcnt 0x2
	v_mul_f32_e32 v12, s22, v12
	v_mul_f32_e32 v0, s22, v13
	s_wait_loadcnt 0x1
	s_delay_alu instid0(VALU_DEP_1) | instskip(NEXT) | instid1(VALU_DEP_3)
	v_mul_f32_e32 v13, v0, v15
	v_mul_f32_e32 v15, v12, v15
	s_delay_alu instid0(VALU_DEP_2) | instskip(NEXT) | instid1(VALU_DEP_2)
	v_fmac_f32_e32 v13, v12, v14
	v_fma_f32 v0, v14, v0, -v15
	s_wait_loadcnt 0x0
	s_delay_alu instid0(VALU_DEP_1)
	v_dual_add_f32 v12, v18, v13 :: v_dual_add_f32 v13, v0, v19
	global_store_b64 v[16:17], v[12:13], off
.LBB0_14:                               ;   in Loop: Header=BB0_4 Depth=1
	s_or_b32 exec_lo, exec_lo, s26
	s_delay_alu instid0(SALU_CYCLE_1)
	s_and_not1_b32 vcc_lo, exec_lo, s24
	s_wait_alu 0xfffe
	s_cbranch_vccnz .LBB0_19
; %bb.15:                               ;   in Loop: Header=BB0_4 Depth=1
	s_and_b32 s25, s7, exec_lo
	s_and_b32 s27, s11, exec_lo
	s_cbranch_execnz .LBB0_17
.LBB0_16:                               ;   in Loop: Header=BB0_4 Depth=1
	s_and_not1_b32 s26, s27, exec_lo
	s_and_b32 s27, s9, exec_lo
	s_or_b32 s25, s25, exec_lo
	s_or_b32 s27, s26, s27
.LBB0_17:                               ;   in Loop: Header=BB0_4 Depth=1
	s_delay_alu instid0(SALU_CYCLE_1)
	s_and_saveexec_b32 s26, s27
	s_cbranch_execnz .LBB0_20
; %bb.18:                               ;   in Loop: Header=BB0_4 Depth=1
	s_or_b32 exec_lo, exec_lo, s26
	s_and_saveexec_b32 s26, s25
	s_cbranch_execz .LBB0_3
	s_branch .LBB0_23
.LBB0_19:                               ;   in Loop: Header=BB0_4 Depth=1
	s_mov_b32 s27, 0
	s_mov_b32 s25, 0
	s_branch .LBB0_16
.LBB0_20:                               ;   in Loop: Header=BB0_4 Depth=1
	s_and_saveexec_b32 s27, s10
	s_cbranch_execz .LBB0_22
; %bb.21:                               ;   in Loop: Header=BB0_4 Depth=1
	global_load_b64 v[12:13], v[10:11], off
	v_add_co_u32 v14, vcc_lo, s0, v8
	s_wait_alu 0xfffd
	v_add_co_ci_u32_e64 v15, null, s1, v9, vcc_lo
	global_load_b32 v0, v[14:15], off offset:512
	s_wait_loadcnt 0x1
	v_mul_f32_e32 v13, v13, v13
	s_delay_alu instid0(VALU_DEP_1) | instskip(SKIP_1) | instid1(VALU_DEP_1)
	v_fmac_f32_e32 v13, v12, v12
	s_wait_loadcnt 0x0
	v_fmac_f32_e32 v0, s22, v13
	global_store_b64 v[14:15], v[0:1], off offset:512
.LBB0_22:                               ;   in Loop: Header=BB0_4 Depth=1
	s_or_b32 exec_lo, exec_lo, s27
	s_delay_alu instid0(SALU_CYCLE_1)
	s_and_not1_b32 s25, s25, exec_lo
	s_or_b32 exec_lo, exec_lo, s26
	s_and_saveexec_b32 s26, s25
	s_cbranch_execz .LBB0_3
.LBB0_23:                               ;   in Loop: Header=BB0_4 Depth=1
	v_add_co_u32 v12, vcc_lo, s2, v4
	s_wait_alu 0xfffd
	v_add_co_ci_u32_e64 v13, null, s3, v5, vcc_lo
	v_add_co_u32 v14, vcc_lo, s0, v8
	s_wait_alu 0xfffd
	v_add_co_ci_u32_e64 v15, null, s1, v9, vcc_lo
	s_clause 0x1
	global_load_b64 v[12:13], v[12:13], off
	global_load_b64 v[10:11], v[10:11], off
	global_load_b64 v[16:17], v[14:15], off offset:512
	s_wait_loadcnt 0x2
	v_mul_f32_e32 v12, s22, v12
	v_mul_f32_e32 v0, s22, v13
	s_wait_loadcnt 0x1
	s_delay_alu instid0(VALU_DEP_1) | instskip(NEXT) | instid1(VALU_DEP_3)
	v_mul_f32_e32 v13, v0, v11
	v_mul_f32_e32 v11, v12, v11
	s_delay_alu instid0(VALU_DEP_2) | instskip(NEXT) | instid1(VALU_DEP_2)
	v_fmac_f32_e32 v13, v12, v10
	v_fma_f32 v0, v10, v0, -v11
	s_wait_loadcnt 0x0
	s_delay_alu instid0(VALU_DEP_2) | instskip(NEXT) | instid1(VALU_DEP_2)
	v_add_f32_e32 v10, v16, v13
	v_add_f32_e32 v11, v0, v17
	global_store_b64 v[14:15], v[10:11], off offset:512
	s_branch .LBB0_3
.LBB0_24:
	s_endpgm
	.section	.rodata,"a",@progbits
	.p2align	6, 0x0
	.amdhsa_kernel _ZL18rocblas_hpr_kernelILi64ELi16ELi2EPKfPK19rocblas_complex_numIfEPS3_EvbiT2_T3_lllT4_lli
		.amdhsa_group_segment_fixed_size 0
		.amdhsa_private_segment_fixed_size 0
		.amdhsa_kernarg_size 76
		.amdhsa_user_sgpr_count 2
		.amdhsa_user_sgpr_dispatch_ptr 0
		.amdhsa_user_sgpr_queue_ptr 0
		.amdhsa_user_sgpr_kernarg_segment_ptr 1
		.amdhsa_user_sgpr_dispatch_id 0
		.amdhsa_user_sgpr_private_segment_size 0
		.amdhsa_wavefront_size32 1
		.amdhsa_uses_dynamic_stack 0
		.amdhsa_enable_private_segment 0
		.amdhsa_system_sgpr_workgroup_id_x 1
		.amdhsa_system_sgpr_workgroup_id_y 1
		.amdhsa_system_sgpr_workgroup_id_z 1
		.amdhsa_system_sgpr_workgroup_info 0
		.amdhsa_system_vgpr_workitem_id 1
		.amdhsa_next_free_vgpr 20
		.amdhsa_next_free_sgpr 30
		.amdhsa_reserve_vcc 1
		.amdhsa_float_round_mode_32 0
		.amdhsa_float_round_mode_16_64 0
		.amdhsa_float_denorm_mode_32 3
		.amdhsa_float_denorm_mode_16_64 3
		.amdhsa_fp16_overflow 0
		.amdhsa_workgroup_processor_mode 1
		.amdhsa_memory_ordered 1
		.amdhsa_forward_progress 1
		.amdhsa_inst_pref_size 11
		.amdhsa_round_robin_scheduling 0
		.amdhsa_exception_fp_ieee_invalid_op 0
		.amdhsa_exception_fp_denorm_src 0
		.amdhsa_exception_fp_ieee_div_zero 0
		.amdhsa_exception_fp_ieee_overflow 0
		.amdhsa_exception_fp_ieee_underflow 0
		.amdhsa_exception_fp_ieee_inexact 0
		.amdhsa_exception_int_div_zero 0
	.end_amdhsa_kernel
	.section	.text._ZL18rocblas_hpr_kernelILi64ELi16ELi2EPKfPK19rocblas_complex_numIfEPS3_EvbiT2_T3_lllT4_lli,"axG",@progbits,_ZL18rocblas_hpr_kernelILi64ELi16ELi2EPKfPK19rocblas_complex_numIfEPS3_EvbiT2_T3_lllT4_lli,comdat
.Lfunc_end0:
	.size	_ZL18rocblas_hpr_kernelILi64ELi16ELi2EPKfPK19rocblas_complex_numIfEPS3_EvbiT2_T3_lllT4_lli, .Lfunc_end0-_ZL18rocblas_hpr_kernelILi64ELi16ELi2EPKfPK19rocblas_complex_numIfEPS3_EvbiT2_T3_lllT4_lli
                                        ; -- End function
	.set _ZL18rocblas_hpr_kernelILi64ELi16ELi2EPKfPK19rocblas_complex_numIfEPS3_EvbiT2_T3_lllT4_lli.num_vgpr, 20
	.set _ZL18rocblas_hpr_kernelILi64ELi16ELi2EPKfPK19rocblas_complex_numIfEPS3_EvbiT2_T3_lllT4_lli.num_agpr, 0
	.set _ZL18rocblas_hpr_kernelILi64ELi16ELi2EPKfPK19rocblas_complex_numIfEPS3_EvbiT2_T3_lllT4_lli.numbered_sgpr, 30
	.set _ZL18rocblas_hpr_kernelILi64ELi16ELi2EPKfPK19rocblas_complex_numIfEPS3_EvbiT2_T3_lllT4_lli.num_named_barrier, 0
	.set _ZL18rocblas_hpr_kernelILi64ELi16ELi2EPKfPK19rocblas_complex_numIfEPS3_EvbiT2_T3_lllT4_lli.private_seg_size, 0
	.set _ZL18rocblas_hpr_kernelILi64ELi16ELi2EPKfPK19rocblas_complex_numIfEPS3_EvbiT2_T3_lllT4_lli.uses_vcc, 1
	.set _ZL18rocblas_hpr_kernelILi64ELi16ELi2EPKfPK19rocblas_complex_numIfEPS3_EvbiT2_T3_lllT4_lli.uses_flat_scratch, 0
	.set _ZL18rocblas_hpr_kernelILi64ELi16ELi2EPKfPK19rocblas_complex_numIfEPS3_EvbiT2_T3_lllT4_lli.has_dyn_sized_stack, 0
	.set _ZL18rocblas_hpr_kernelILi64ELi16ELi2EPKfPK19rocblas_complex_numIfEPS3_EvbiT2_T3_lllT4_lli.has_recursion, 0
	.set _ZL18rocblas_hpr_kernelILi64ELi16ELi2EPKfPK19rocblas_complex_numIfEPS3_EvbiT2_T3_lllT4_lli.has_indirect_call, 0
	.section	.AMDGPU.csdata,"",@progbits
; Kernel info:
; codeLenInByte = 1304
; TotalNumSgprs: 32
; NumVgprs: 20
; ScratchSize: 0
; MemoryBound: 0
; FloatMode: 240
; IeeeMode: 1
; LDSByteSize: 0 bytes/workgroup (compile time only)
; SGPRBlocks: 0
; VGPRBlocks: 2
; NumSGPRsForWavesPerEU: 32
; NumVGPRsForWavesPerEU: 20
; Occupancy: 16
; WaveLimiterHint : 0
; COMPUTE_PGM_RSRC2:SCRATCH_EN: 0
; COMPUTE_PGM_RSRC2:USER_SGPR: 2
; COMPUTE_PGM_RSRC2:TRAP_HANDLER: 0
; COMPUTE_PGM_RSRC2:TGID_X_EN: 1
; COMPUTE_PGM_RSRC2:TGID_Y_EN: 1
; COMPUTE_PGM_RSRC2:TGID_Z_EN: 1
; COMPUTE_PGM_RSRC2:TIDIG_COMP_CNT: 1
	.section	.text._ZL18rocblas_hpr_kernelILi64ELi16ELi2EfPK19rocblas_complex_numIfEPS1_EvbiT2_T3_lllT4_lli,"axG",@progbits,_ZL18rocblas_hpr_kernelILi64ELi16ELi2EfPK19rocblas_complex_numIfEPS1_EvbiT2_T3_lllT4_lli,comdat
	.globl	_ZL18rocblas_hpr_kernelILi64ELi16ELi2EfPK19rocblas_complex_numIfEPS1_EvbiT2_T3_lllT4_lli ; -- Begin function _ZL18rocblas_hpr_kernelILi64ELi16ELi2EfPK19rocblas_complex_numIfEPS1_EvbiT2_T3_lllT4_lli
	.p2align	8
	.type	_ZL18rocblas_hpr_kernelILi64ELi16ELi2EfPK19rocblas_complex_numIfEPS1_EvbiT2_T3_lllT4_lli,@function
_ZL18rocblas_hpr_kernelILi64ELi16ELi2EfPK19rocblas_complex_numIfEPS1_EvbiT2_T3_lllT4_lli: ; @_ZL18rocblas_hpr_kernelILi64ELi16ELi2EfPK19rocblas_complex_numIfEPS1_EvbiT2_T3_lllT4_lli
; %bb.0:
	s_load_b96 s[24:26], s[0:1], 0x0
	s_wait_kmcnt 0x0
	s_cmp_eq_f32 s26, 0
	s_cbranch_scc1 .LBB1_24
; %bb.1:
	s_load_b32 s27, s[0:1], 0x48
	s_lshr_b32 s28, ttmp7, 16
	s_wait_kmcnt 0x0
	s_cmp_ge_u32 s28, s27
	s_cbranch_scc1 .LBB1_24
; %bb.2:
	s_clause 0x1
	s_load_b256 s[8:15], s[0:1], 0x10
	s_load_b256 s[16:23], s[0:1], 0x30
	v_and_b32_e32 v1, 0x3ff, v0
	v_bfe_u32 v0, v0, 10, 10
	s_mov_b32 s29, 0
	s_delay_alu instid0(VALU_DEP_2) | instskip(NEXT) | instid1(VALU_DEP_1)
	v_lshl_add_u32 v9, ttmp9, 7, v1
	v_dual_mov_b32 v1, 0 :: v_dual_add_nc_u32 v10, 64, v9
	v_ashrrev_i32_e32 v2, 31, v9
	v_cmp_gt_i32_e32 vcc_lo, s25, v9
	v_cmp_le_i32_e64 s0, s25, v9
	s_delay_alu instid0(VALU_DEP_4)
	v_ashrrev_i32_e32 v4, 31, v10
	v_cmp_gt_i32_e64 s1, s25, v10
	s_wait_kmcnt 0x0
	s_lshl_b64 s[4:5], s[10:11], 3
	s_lshl_b64 s[6:7], s[18:19], 3
	s_bitcmp1_b32 s24, 0
	v_mul_lo_u32 v11, s12, v2
	s_cselect_b32 s2, -1, 0
	s_and_b32 s3, ttmp7, 0xffff
	v_mul_lo_u32 v12, s13, v9
	v_lshl_add_u32 v0, s3, 4, v0
	s_lshl_b32 s3, s25, 1
	v_mad_co_u64_u32 v[2:3], null, s12, v9, 0
	v_mul_lo_u32 v13, s12, v4
	s_wait_alu 0xfffe
	v_sub_nc_u32_e32 v8, s3, v0
	v_mad_co_u64_u32 v[6:7], null, v0, v0, v[0:1]
	v_mul_lo_u32 v14, s13, v10
	v_mad_co_u64_u32 v[4:5], null, s12, v10, 0
	s_delay_alu instid0(VALU_DEP_4)
	v_mad_co_u64_u32 v[7:8], null, v0, v8, v[0:1]
	v_add3_u32 v3, v3, v11, v12
	v_lshrrev_b32_e32 v11, 31, v6
	v_sub_nc_u32_e32 v8, v9, v0
	s_add_nc_u64 s[18:19], s[8:9], s[4:5]
	v_add3_u32 v5, v5, v13, v14
	v_ashrrev_i32_e32 v13, 31, v0
	v_lshrrev_b32_e32 v12, 31, v7
	v_add_nc_u32_e32 v11, v6, v11
	s_add_nc_u64 s[16:17], s[16:17], s[6:7]
	v_cmp_le_i32_e64 s5, v9, v0
	v_cmp_lt_i32_e64 s6, v9, v0
	v_add_nc_u32_e32 v12, v7, v12
	v_ashrrev_i32_e32 v11, 1, v11
	v_cmp_eq_u32_e64 s7, v9, v0
	v_mul_lo_u32 v14, s13, v0
	v_mad_co_u64_u32 v[6:7], null, s12, v0, 0
	v_ashrrev_i32_e32 v12, 1, v12
	v_add_nc_u32_e32 v9, v11, v9
	v_mul_lo_u32 v11, s12, v13
	v_cmp_gt_i32_e64 s4, s25, v0
	v_cmp_lt_i32_e64 s8, v0, v10
	v_add_nc_u32_e32 v8, v8, v12
	v_cmp_le_i32_e64 s3, s25, v0
	v_cmp_ge_i32_e64 s9, v10, v0
	v_cmp_eq_u32_e64 s10, v10, v0
	v_lshlrev_b64_e32 v[2:3], 3, v[2:3]
	v_cndmask_b32_e64 v8, v8, v9, s2
	v_add3_u32 v7, v7, v11, v14
	v_lshlrev_b64_e32 v[4:5], 3, v[4:5]
	s_and_b32 s4, s6, s4
	s_and_b32 s6, s7, vcc_lo
	v_ashrrev_i32_e32 v9, 31, v8
	v_lshlrev_b64_e32 v[6:7], 3, v[6:7]
	s_and_b32 s7, s1, s8
	s_or_b32 s5, s5, s0
	s_xor_b32 s8, s4, -1
	v_lshlrev_b64_e32 v[8:9], 3, v[8:9]
	s_xor_b32 s11, s7, -1
	s_xor_b32 s12, s2, -1
	s_or_b32 s9, s3, s9
	s_and_b32 s10, s10, s1
	s_branch .LBB1_4
.LBB1_3:                                ;   in Loop: Header=BB1_4 Depth=1
	s_or_b32 exec_lo, exec_lo, s22
	s_add_co_i32 s28, s28, 0x10000
	s_delay_alu instid0(SALU_CYCLE_1)
	s_cmp_lt_u32 s28, s27
	s_cbranch_scc0 .LBB1_24
.LBB1_4:                                ; =>This Inner Loop Header: Depth=1
	s_wait_alu 0xfffe
	s_and_b32 vcc_lo, exec_lo, s12
	s_mov_b32 s22, 0
	s_mov_b32 s13, 0
	s_mov_b32 s0, -1
	s_wait_alu 0xfffe
	s_cbranch_vccz .LBB1_6
; %bb.5:                                ;   in Loop: Header=BB1_4 Depth=1
	s_mov_b32 s0, 0
	s_mov_b32 s13, -1
	s_and_b32 s22, s5, exec_lo
.LBB1_6:                                ;   in Loop: Header=BB1_4 Depth=1
	s_wait_alu 0xfffe
	s_and_not1_b32 vcc_lo, exec_lo, s0
	s_wait_alu 0xfffe
	s_cbranch_vccnz .LBB1_8
; %bb.7:                                ;   in Loop: Header=BB1_4 Depth=1
	s_and_not1_b32 s0, s13, exec_lo
	s_and_b32 s1, s4, exec_lo
	s_and_not1_b32 s2, s22, exec_lo
	s_and_b32 s3, s8, exec_lo
	s_wait_alu 0xfffe
	s_or_b32 s13, s0, s1
	s_or_b32 s22, s2, s3
.LBB1_8:                                ;   in Loop: Header=BB1_4 Depth=1
	s_mul_u64 s[0:1], s[14:15], s[28:29]
	s_mul_u64 s[2:3], s[20:21], s[28:29]
	s_wait_alu 0xfffe
	s_lshl_b64 s[0:1], s[0:1], 3
	s_lshl_b64 s[24:25], s[2:3], 3
	s_wait_alu 0xfffe
	s_add_nc_u64 s[2:3], s[18:19], s[0:1]
	s_add_nc_u64 s[0:1], s[16:17], s[24:25]
	s_and_saveexec_b32 s23, s22
	s_delay_alu instid0(SALU_CYCLE_1)
	s_xor_b32 s22, exec_lo, s23
	s_cbranch_execz .LBB1_12
; %bb.9:                                ;   in Loop: Header=BB1_4 Depth=1
	s_and_saveexec_b32 s23, s6
	s_cbranch_execz .LBB1_11
; %bb.10:                               ;   in Loop: Header=BB1_4 Depth=1
	s_wait_alu 0xfffe
	v_add_co_u32 v10, vcc_lo, s2, v2
	s_wait_alu 0xfffd
	v_add_co_ci_u32_e64 v11, null, s3, v3, vcc_lo
	v_add_co_u32 v12, vcc_lo, s0, v8
	s_wait_alu 0xfffd
	v_add_co_ci_u32_e64 v13, null, s1, v9, vcc_lo
	global_load_b64 v[10:11], v[10:11], off
	global_load_b32 v0, v[12:13], off
	s_wait_loadcnt 0x1
	v_mul_f32_e32 v11, v11, v11
	s_delay_alu instid0(VALU_DEP_1) | instskip(SKIP_1) | instid1(VALU_DEP_1)
	v_fmac_f32_e32 v11, v10, v10
	s_wait_loadcnt 0x0
	v_fmac_f32_e32 v0, s26, v11
	global_store_b64 v[12:13], v[0:1], off
.LBB1_11:                               ;   in Loop: Header=BB1_4 Depth=1
	s_or_b32 exec_lo, exec_lo, s23
	s_delay_alu instid0(SALU_CYCLE_1)
	s_and_not1_b32 s13, s13, exec_lo
.LBB1_12:                               ;   in Loop: Header=BB1_4 Depth=1
	s_or_b32 exec_lo, exec_lo, s22
	s_wait_alu 0xfffe
	v_add_co_u32 v10, vcc_lo, s2, v6
	s_wait_alu 0xfffd
	v_add_co_ci_u32_e64 v11, null, s3, v7, vcc_lo
	s_and_saveexec_b32 s22, s13
	s_cbranch_execz .LBB1_14
; %bb.13:                               ;   in Loop: Header=BB1_4 Depth=1
	v_add_co_u32 v12, vcc_lo, s2, v2
	s_wait_alu 0xfffd
	v_add_co_ci_u32_e64 v13, null, s3, v3, vcc_lo
	v_add_co_u32 v16, vcc_lo, s0, v8
	s_wait_alu 0xfffd
	v_add_co_ci_u32_e64 v17, null, s1, v9, vcc_lo
	s_clause 0x1
	global_load_b64 v[12:13], v[12:13], off
	global_load_b64 v[14:15], v[10:11], off
	;; [unrolled: 1-line block ×3, first 2 shown]
	s_wait_loadcnt 0x2
	v_mul_f32_e32 v12, s26, v12
	v_mul_f32_e32 v0, s26, v13
	s_wait_loadcnt 0x1
	s_delay_alu instid0(VALU_DEP_1) | instskip(NEXT) | instid1(VALU_DEP_3)
	v_mul_f32_e32 v13, v0, v15
	v_mul_f32_e32 v15, v12, v15
	s_delay_alu instid0(VALU_DEP_2) | instskip(NEXT) | instid1(VALU_DEP_2)
	v_fmac_f32_e32 v13, v12, v14
	v_fma_f32 v0, v14, v0, -v15
	s_wait_loadcnt 0x0
	s_delay_alu instid0(VALU_DEP_1)
	v_dual_add_f32 v12, v18, v13 :: v_dual_add_f32 v13, v0, v19
	global_store_b64 v[16:17], v[12:13], off
.LBB1_14:                               ;   in Loop: Header=BB1_4 Depth=1
	s_or_b32 exec_lo, exec_lo, s22
	s_delay_alu instid0(SALU_CYCLE_1)
	s_and_not1_b32 vcc_lo, exec_lo, s12
	s_wait_alu 0xfffe
	s_cbranch_vccnz .LBB1_19
; %bb.15:                               ;   in Loop: Header=BB1_4 Depth=1
	s_and_b32 s13, s7, exec_lo
	s_and_b32 s23, s11, exec_lo
	s_cbranch_execnz .LBB1_17
.LBB1_16:                               ;   in Loop: Header=BB1_4 Depth=1
	s_and_not1_b32 s22, s23, exec_lo
	s_and_b32 s23, s9, exec_lo
	s_wait_alu 0xfffe
	s_or_b32 s13, s13, exec_lo
	s_or_b32 s23, s22, s23
.LBB1_17:                               ;   in Loop: Header=BB1_4 Depth=1
	s_delay_alu instid0(SALU_CYCLE_1)
	s_and_saveexec_b32 s22, s23
	s_cbranch_execnz .LBB1_20
; %bb.18:                               ;   in Loop: Header=BB1_4 Depth=1
	s_or_b32 exec_lo, exec_lo, s22
	s_wait_alu 0xfffe
	s_and_saveexec_b32 s22, s13
	s_cbranch_execz .LBB1_3
	s_branch .LBB1_23
.LBB1_19:                               ;   in Loop: Header=BB1_4 Depth=1
	s_mov_b32 s23, 0
	s_mov_b32 s13, 0
	s_branch .LBB1_16
.LBB1_20:                               ;   in Loop: Header=BB1_4 Depth=1
	s_and_saveexec_b32 s23, s10
	s_cbranch_execz .LBB1_22
; %bb.21:                               ;   in Loop: Header=BB1_4 Depth=1
	global_load_b64 v[12:13], v[10:11], off
	v_add_co_u32 v14, vcc_lo, s0, v8
	s_wait_alu 0xfffd
	v_add_co_ci_u32_e64 v15, null, s1, v9, vcc_lo
	global_load_b32 v0, v[14:15], off offset:512
	s_wait_loadcnt 0x1
	v_mul_f32_e32 v13, v13, v13
	s_delay_alu instid0(VALU_DEP_1) | instskip(SKIP_1) | instid1(VALU_DEP_1)
	v_fmac_f32_e32 v13, v12, v12
	s_wait_loadcnt 0x0
	v_fmac_f32_e32 v0, s26, v13
	global_store_b64 v[14:15], v[0:1], off offset:512
.LBB1_22:                               ;   in Loop: Header=BB1_4 Depth=1
	s_or_b32 exec_lo, exec_lo, s23
	s_wait_alu 0xfffe
	s_and_not1_b32 s13, s13, exec_lo
	s_or_b32 exec_lo, exec_lo, s22
	s_wait_alu 0xfffe
	s_and_saveexec_b32 s22, s13
	s_cbranch_execz .LBB1_3
.LBB1_23:                               ;   in Loop: Header=BB1_4 Depth=1
	v_add_co_u32 v12, vcc_lo, s2, v4
	s_wait_alu 0xfffd
	v_add_co_ci_u32_e64 v13, null, s3, v5, vcc_lo
	v_add_co_u32 v14, vcc_lo, s0, v8
	s_wait_alu 0xfffd
	v_add_co_ci_u32_e64 v15, null, s1, v9, vcc_lo
	s_clause 0x1
	global_load_b64 v[12:13], v[12:13], off
	global_load_b64 v[10:11], v[10:11], off
	global_load_b64 v[16:17], v[14:15], off offset:512
	s_wait_loadcnt 0x2
	v_mul_f32_e32 v12, s26, v12
	v_mul_f32_e32 v0, s26, v13
	s_wait_loadcnt 0x1
	s_delay_alu instid0(VALU_DEP_1) | instskip(NEXT) | instid1(VALU_DEP_3)
	v_mul_f32_e32 v13, v0, v11
	v_mul_f32_e32 v11, v12, v11
	s_delay_alu instid0(VALU_DEP_2) | instskip(NEXT) | instid1(VALU_DEP_2)
	v_fmac_f32_e32 v13, v12, v10
	v_fma_f32 v0, v10, v0, -v11
	s_wait_loadcnt 0x0
	s_delay_alu instid0(VALU_DEP_2) | instskip(NEXT) | instid1(VALU_DEP_2)
	v_add_f32_e32 v10, v16, v13
	v_add_f32_e32 v11, v0, v17
	global_store_b64 v[14:15], v[10:11], off offset:512
	s_branch .LBB1_3
.LBB1_24:
	s_endpgm
	.section	.rodata,"a",@progbits
	.p2align	6, 0x0
	.amdhsa_kernel _ZL18rocblas_hpr_kernelILi64ELi16ELi2EfPK19rocblas_complex_numIfEPS1_EvbiT2_T3_lllT4_lli
		.amdhsa_group_segment_fixed_size 0
		.amdhsa_private_segment_fixed_size 0
		.amdhsa_kernarg_size 76
		.amdhsa_user_sgpr_count 2
		.amdhsa_user_sgpr_dispatch_ptr 0
		.amdhsa_user_sgpr_queue_ptr 0
		.amdhsa_user_sgpr_kernarg_segment_ptr 1
		.amdhsa_user_sgpr_dispatch_id 0
		.amdhsa_user_sgpr_private_segment_size 0
		.amdhsa_wavefront_size32 1
		.amdhsa_uses_dynamic_stack 0
		.amdhsa_enable_private_segment 0
		.amdhsa_system_sgpr_workgroup_id_x 1
		.amdhsa_system_sgpr_workgroup_id_y 1
		.amdhsa_system_sgpr_workgroup_id_z 1
		.amdhsa_system_sgpr_workgroup_info 0
		.amdhsa_system_vgpr_workitem_id 1
		.amdhsa_next_free_vgpr 20
		.amdhsa_next_free_sgpr 30
		.amdhsa_reserve_vcc 1
		.amdhsa_float_round_mode_32 0
		.amdhsa_float_round_mode_16_64 0
		.amdhsa_float_denorm_mode_32 3
		.amdhsa_float_denorm_mode_16_64 3
		.amdhsa_fp16_overflow 0
		.amdhsa_workgroup_processor_mode 1
		.amdhsa_memory_ordered 1
		.amdhsa_forward_progress 1
		.amdhsa_inst_pref_size 11
		.amdhsa_round_robin_scheduling 0
		.amdhsa_exception_fp_ieee_invalid_op 0
		.amdhsa_exception_fp_denorm_src 0
		.amdhsa_exception_fp_ieee_div_zero 0
		.amdhsa_exception_fp_ieee_overflow 0
		.amdhsa_exception_fp_ieee_underflow 0
		.amdhsa_exception_fp_ieee_inexact 0
		.amdhsa_exception_int_div_zero 0
	.end_amdhsa_kernel
	.section	.text._ZL18rocblas_hpr_kernelILi64ELi16ELi2EfPK19rocblas_complex_numIfEPS1_EvbiT2_T3_lllT4_lli,"axG",@progbits,_ZL18rocblas_hpr_kernelILi64ELi16ELi2EfPK19rocblas_complex_numIfEPS1_EvbiT2_T3_lllT4_lli,comdat
.Lfunc_end1:
	.size	_ZL18rocblas_hpr_kernelILi64ELi16ELi2EfPK19rocblas_complex_numIfEPS1_EvbiT2_T3_lllT4_lli, .Lfunc_end1-_ZL18rocblas_hpr_kernelILi64ELi16ELi2EfPK19rocblas_complex_numIfEPS1_EvbiT2_T3_lllT4_lli
                                        ; -- End function
	.set _ZL18rocblas_hpr_kernelILi64ELi16ELi2EfPK19rocblas_complex_numIfEPS1_EvbiT2_T3_lllT4_lli.num_vgpr, 20
	.set _ZL18rocblas_hpr_kernelILi64ELi16ELi2EfPK19rocblas_complex_numIfEPS1_EvbiT2_T3_lllT4_lli.num_agpr, 0
	.set _ZL18rocblas_hpr_kernelILi64ELi16ELi2EfPK19rocblas_complex_numIfEPS1_EvbiT2_T3_lllT4_lli.numbered_sgpr, 30
	.set _ZL18rocblas_hpr_kernelILi64ELi16ELi2EfPK19rocblas_complex_numIfEPS1_EvbiT2_T3_lllT4_lli.num_named_barrier, 0
	.set _ZL18rocblas_hpr_kernelILi64ELi16ELi2EfPK19rocblas_complex_numIfEPS1_EvbiT2_T3_lllT4_lli.private_seg_size, 0
	.set _ZL18rocblas_hpr_kernelILi64ELi16ELi2EfPK19rocblas_complex_numIfEPS1_EvbiT2_T3_lllT4_lli.uses_vcc, 1
	.set _ZL18rocblas_hpr_kernelILi64ELi16ELi2EfPK19rocblas_complex_numIfEPS1_EvbiT2_T3_lllT4_lli.uses_flat_scratch, 0
	.set _ZL18rocblas_hpr_kernelILi64ELi16ELi2EfPK19rocblas_complex_numIfEPS1_EvbiT2_T3_lllT4_lli.has_dyn_sized_stack, 0
	.set _ZL18rocblas_hpr_kernelILi64ELi16ELi2EfPK19rocblas_complex_numIfEPS1_EvbiT2_T3_lllT4_lli.has_recursion, 0
	.set _ZL18rocblas_hpr_kernelILi64ELi16ELi2EfPK19rocblas_complex_numIfEPS1_EvbiT2_T3_lllT4_lli.has_indirect_call, 0
	.section	.AMDGPU.csdata,"",@progbits
; Kernel info:
; codeLenInByte = 1320
; TotalNumSgprs: 32
; NumVgprs: 20
; ScratchSize: 0
; MemoryBound: 0
; FloatMode: 240
; IeeeMode: 1
; LDSByteSize: 0 bytes/workgroup (compile time only)
; SGPRBlocks: 0
; VGPRBlocks: 2
; NumSGPRsForWavesPerEU: 32
; NumVGPRsForWavesPerEU: 20
; Occupancy: 16
; WaveLimiterHint : 0
; COMPUTE_PGM_RSRC2:SCRATCH_EN: 0
; COMPUTE_PGM_RSRC2:USER_SGPR: 2
; COMPUTE_PGM_RSRC2:TRAP_HANDLER: 0
; COMPUTE_PGM_RSRC2:TGID_X_EN: 1
; COMPUTE_PGM_RSRC2:TGID_Y_EN: 1
; COMPUTE_PGM_RSRC2:TGID_Z_EN: 1
; COMPUTE_PGM_RSRC2:TIDIG_COMP_CNT: 1
	.section	.text._ZL18rocblas_hpr_kernelILi64ELi16ELi2EPKdPK19rocblas_complex_numIdEPS3_EvbiT2_T3_lllT4_lli,"axG",@progbits,_ZL18rocblas_hpr_kernelILi64ELi16ELi2EPKdPK19rocblas_complex_numIdEPS3_EvbiT2_T3_lllT4_lli,comdat
	.globl	_ZL18rocblas_hpr_kernelILi64ELi16ELi2EPKdPK19rocblas_complex_numIdEPS3_EvbiT2_T3_lllT4_lli ; -- Begin function _ZL18rocblas_hpr_kernelILi64ELi16ELi2EPKdPK19rocblas_complex_numIdEPS3_EvbiT2_T3_lllT4_lli
	.p2align	8
	.type	_ZL18rocblas_hpr_kernelILi64ELi16ELi2EPKdPK19rocblas_complex_numIdEPS3_EvbiT2_T3_lllT4_lli,@function
_ZL18rocblas_hpr_kernelILi64ELi16ELi2EPKdPK19rocblas_complex_numIdEPS3_EvbiT2_T3_lllT4_lli: ; @_ZL18rocblas_hpr_kernelILi64ELi16ELi2EPKdPK19rocblas_complex_numIdEPS3_EvbiT2_T3_lllT4_lli
; %bb.0:
	s_load_b512 s[4:19], s[0:1], 0x8
	s_wait_kmcnt 0x0
	s_load_b64 s[20:21], s[4:5], 0x0
	s_wait_kmcnt 0x0
	v_cmp_eq_f64_e64 s2, s[20:21], 0
	s_and_b32 vcc_lo, exec_lo, s2
	s_cbranch_vccnz .LBB2_24
; %bb.1:
	s_load_b32 s24, s[0:1], 0x48
	s_lshr_b32 s22, ttmp7, 16
	s_wait_kmcnt 0x0
	s_cmp_ge_u32 s22, s24
	s_cbranch_scc1 .LBB2_24
; %bb.2:
	s_load_b64 s[4:5], s[0:1], 0x0
	v_dual_mov_b32 v2, 0 :: v_dual_and_b32 v1, 0x3ff, v0
	s_lshl_b64 s[0:1], s[8:9], 4
	s_lshl_b64 s[2:3], s[16:17], 4
	v_bfe_u32 v3, v0, 10, 10
	s_delay_alu instid0(VALU_DEP_2) | instskip(SKIP_3) | instid1(VALU_DEP_1)
	v_lshl_add_u32 v11, ttmp9, 7, v1
	s_add_nc_u64 s[16:17], s[6:7], s[0:1]
	s_add_nc_u64 s[14:15], s[14:15], s[2:3]
	s_mov_b32 s23, 0
	v_ashrrev_i32_e32 v4, 31, v11
	v_add_nc_u32_e32 v12, 64, v11
	v_mul_lo_u32 v5, s11, v11
	v_mad_co_u64_u32 v[0:1], null, s10, v11, 0
	s_delay_alu instid0(VALU_DEP_4) | instskip(NEXT) | instid1(VALU_DEP_4)
	v_mul_lo_u32 v4, s10, v4
	v_ashrrev_i32_e32 v8, 31, v12
	v_mul_lo_u32 v13, s11, v12
	v_mad_co_u64_u32 v[6:7], null, s10, v12, 0
	s_wait_kmcnt 0x0
	s_bitcmp1_b32 s4, 0
	v_mul_lo_u32 v14, s10, v8
	s_cselect_b32 vcc_lo, -1, 0
	s_and_b32 s0, ttmp7, 0xffff
	s_lshl_b32 s1, s5, 1
	s_wait_alu 0xfffe
	v_lshl_add_u32 v3, s0, 4, v3
	v_add3_u32 v1, v1, v4, v5
	v_cmp_gt_i32_e64 s0, s5, v11
	v_cmp_gt_i32_e64 s2, s5, v12
	v_add3_u32 v7, v7, v14, v13
	v_sub_nc_u32_e32 v10, s1, v3
	v_mad_co_u64_u32 v[8:9], null, v3, v3, v[3:4]
	v_ashrrev_i32_e32 v13, 31, v3
	v_cmp_le_i32_e64 s1, s5, v11
	s_delay_alu instid0(VALU_DEP_4)
	v_mad_co_u64_u32 v[9:10], null, v3, v10, v[3:4]
	v_lshlrev_b64_e32 v[4:5], 4, v[0:1]
	v_sub_nc_u32_e32 v10, v11, v3
	v_lshrrev_b32_e32 v0, 31, v8
	v_cmp_le_i32_e64 s3, s5, v3
	v_cmp_gt_i32_e64 s4, s5, v3
	v_mul_lo_u32 v14, s11, v3
	v_lshrrev_b32_e32 v1, 31, v9
	v_add_nc_u32_e32 v8, v8, v0
	v_cmp_le_i32_e64 s5, v11, v3
	v_cmp_lt_i32_e64 s6, v11, v3
	v_cmp_eq_u32_e64 s7, v11, v3
	v_add_nc_u32_e32 v9, v9, v1
	v_ashrrev_i32_e32 v8, 1, v8
	v_mad_co_u64_u32 v[0:1], null, s10, v3, 0
	v_cmp_lt_i32_e64 s8, v3, v12
	s_delay_alu instid0(VALU_DEP_4) | instskip(NEXT) | instid1(VALU_DEP_4)
	v_ashrrev_i32_e32 v9, 1, v9
	v_add_nc_u32_e32 v8, v8, v11
	v_mul_lo_u32 v11, s10, v13
	v_cmp_ge_i32_e64 s9, v12, v3
	v_cmp_eq_u32_e64 s10, v12, v3
	v_add_nc_u32_e32 v9, v10, v9
	v_lshlrev_b64_e32 v[6:7], 4, v[6:7]
	s_and_b32 s4, s6, s4
	s_and_b32 s6, s7, s0
	;; [unrolled: 1-line block ×3, first 2 shown]
	v_cndmask_b32_e32 v10, v9, v8, vcc_lo
	v_add3_u32 v1, v1, v11, v14
	s_or_b32 s5, s5, s1
	s_wait_alu 0xfffe
	s_xor_b32 s8, s4, -1
	s_xor_b32 s11, s7, -1
	v_ashrrev_i32_e32 v11, 31, v10
	v_lshlrev_b64_e32 v[8:9], 4, v[0:1]
	s_xor_b32 s25, vcc_lo, -1
	s_or_b32 s9, s3, s9
	s_and_b32 s10, s10, s2
	v_lshlrev_b64_e32 v[10:11], 4, v[10:11]
	s_branch .LBB2_4
.LBB2_3:                                ;   in Loop: Header=BB2_4 Depth=1
	s_or_b32 exec_lo, exec_lo, s27
	s_add_co_i32 s22, s22, 0x10000
	s_delay_alu instid0(SALU_CYCLE_1)
	s_cmp_lt_u32 s22, s24
	s_cbranch_scc0 .LBB2_24
.LBB2_4:                                ; =>This Inner Loop Header: Depth=1
	s_and_b32 vcc_lo, exec_lo, s25
	s_mov_b32 s27, 0
	s_mov_b32 s26, 0
	s_mov_b32 s0, -1
	s_wait_alu 0xfffe
	s_cbranch_vccz .LBB2_6
; %bb.5:                                ;   in Loop: Header=BB2_4 Depth=1
	s_mov_b32 s0, 0
	s_mov_b32 s26, -1
	s_and_b32 s27, s5, exec_lo
.LBB2_6:                                ;   in Loop: Header=BB2_4 Depth=1
	s_wait_alu 0xfffe
	s_and_not1_b32 vcc_lo, exec_lo, s0
	s_wait_alu 0xfffe
	s_cbranch_vccnz .LBB2_8
; %bb.7:                                ;   in Loop: Header=BB2_4 Depth=1
	s_and_not1_b32 s0, s26, exec_lo
	s_and_b32 s1, s4, exec_lo
	s_and_not1_b32 s2, s27, exec_lo
	s_and_b32 s3, s8, exec_lo
	s_wait_alu 0xfffe
	s_or_b32 s26, s0, s1
	s_or_b32 s27, s2, s3
.LBB2_8:                                ;   in Loop: Header=BB2_4 Depth=1
	s_mul_u64 s[0:1], s[12:13], s[22:23]
	s_mul_u64 s[2:3], s[18:19], s[22:23]
	s_wait_alu 0xfffe
	s_lshl_b64 s[0:1], s[0:1], 4
	s_lshl_b64 s[28:29], s[2:3], 4
	s_wait_alu 0xfffe
	s_add_nc_u64 s[2:3], s[16:17], s[0:1]
	s_add_nc_u64 s[0:1], s[14:15], s[28:29]
	s_and_saveexec_b32 s28, s27
	s_delay_alu instid0(SALU_CYCLE_1)
	s_xor_b32 s27, exec_lo, s28
	s_cbranch_execz .LBB2_12
; %bb.9:                                ;   in Loop: Header=BB2_4 Depth=1
	s_and_saveexec_b32 s28, s6
	s_cbranch_execz .LBB2_11
; %bb.10:                               ;   in Loop: Header=BB2_4 Depth=1
	s_wait_alu 0xfffe
	v_add_co_u32 v0, vcc_lo, s2, v4
	s_wait_alu 0xfffd
	v_add_co_ci_u32_e64 v1, null, s3, v5, vcc_lo
	v_add_co_u32 v16, vcc_lo, s0, v10
	s_wait_alu 0xfffd
	v_add_co_ci_u32_e64 v17, null, s1, v11, vcc_lo
	global_load_b128 v[12:15], v[0:1], off
	v_mov_b32_e32 v3, v2
	global_load_b64 v[0:1], v[16:17], off
	s_wait_loadcnt 0x1
	v_mul_f64_e32 v[14:15], v[14:15], v[14:15]
	s_delay_alu instid0(VALU_DEP_1) | instskip(SKIP_1) | instid1(VALU_DEP_1)
	v_fma_f64 v[12:13], v[12:13], v[12:13], v[14:15]
	s_wait_loadcnt 0x0
	v_fma_f64 v[0:1], s[20:21], v[12:13], v[0:1]
	global_store_b128 v[16:17], v[0:3], off
.LBB2_11:                               ;   in Loop: Header=BB2_4 Depth=1
	s_or_b32 exec_lo, exec_lo, s28
	s_delay_alu instid0(SALU_CYCLE_1)
	s_and_not1_b32 s26, s26, exec_lo
.LBB2_12:                               ;   in Loop: Header=BB2_4 Depth=1
	s_or_b32 exec_lo, exec_lo, s27
	s_wait_alu 0xfffe
	v_add_co_u32 v12, vcc_lo, s2, v8
	s_wait_alu 0xfffd
	v_add_co_ci_u32_e64 v13, null, s3, v9, vcc_lo
	s_and_saveexec_b32 s27, s26
	s_cbranch_execz .LBB2_14
; %bb.13:                               ;   in Loop: Header=BB2_4 Depth=1
	v_add_co_u32 v0, vcc_lo, s2, v4
	s_wait_alu 0xfffd
	v_add_co_ci_u32_e64 v1, null, s3, v5, vcc_lo
	s_clause 0x1
	global_load_b128 v[14:17], v[0:1], off
	global_load_b128 v[18:21], v[12:13], off
	v_add_co_u32 v0, vcc_lo, s0, v10
	s_wait_alu 0xfffd
	v_add_co_ci_u32_e64 v1, null, s1, v11, vcc_lo
	global_load_b128 v[22:25], v[0:1], off
	s_wait_loadcnt 0x2
	v_mul_f64_e32 v[16:17], s[20:21], v[16:17]
	v_mul_f64_e32 v[14:15], s[20:21], v[14:15]
	s_wait_loadcnt 0x1
	s_delay_alu instid0(VALU_DEP_2) | instskip(NEXT) | instid1(VALU_DEP_2)
	v_mul_f64_e32 v[26:27], v[16:17], v[20:21]
	v_mul_f64_e32 v[20:21], v[14:15], v[20:21]
	s_delay_alu instid0(VALU_DEP_2) | instskip(NEXT) | instid1(VALU_DEP_2)
	v_fma_f64 v[14:15], v[14:15], v[18:19], v[26:27]
	v_fma_f64 v[16:17], v[18:19], v[16:17], -v[20:21]
	s_wait_loadcnt 0x0
	s_delay_alu instid0(VALU_DEP_2) | instskip(NEXT) | instid1(VALU_DEP_2)
	v_add_f64_e32 v[14:15], v[22:23], v[14:15]
	v_add_f64_e32 v[16:17], v[16:17], v[24:25]
	global_store_b128 v[0:1], v[14:17], off
.LBB2_14:                               ;   in Loop: Header=BB2_4 Depth=1
	s_or_b32 exec_lo, exec_lo, s27
	s_delay_alu instid0(SALU_CYCLE_1)
	s_and_not1_b32 vcc_lo, exec_lo, s25
	s_wait_alu 0xfffe
	s_cbranch_vccnz .LBB2_19
; %bb.15:                               ;   in Loop: Header=BB2_4 Depth=1
	s_and_b32 s26, s7, exec_lo
	s_and_b32 s28, s11, exec_lo
	s_cbranch_execnz .LBB2_17
.LBB2_16:                               ;   in Loop: Header=BB2_4 Depth=1
	s_and_not1_b32 s27, s28, exec_lo
	s_and_b32 s28, s9, exec_lo
	s_or_b32 s26, s26, exec_lo
	s_or_b32 s28, s27, s28
.LBB2_17:                               ;   in Loop: Header=BB2_4 Depth=1
	s_delay_alu instid0(SALU_CYCLE_1)
	s_and_saveexec_b32 s27, s28
	s_cbranch_execnz .LBB2_20
; %bb.18:                               ;   in Loop: Header=BB2_4 Depth=1
	s_or_b32 exec_lo, exec_lo, s27
	s_and_saveexec_b32 s27, s26
	s_cbranch_execz .LBB2_3
	s_branch .LBB2_23
.LBB2_19:                               ;   in Loop: Header=BB2_4 Depth=1
	s_mov_b32 s28, 0
	s_mov_b32 s26, 0
	s_branch .LBB2_16
.LBB2_20:                               ;   in Loop: Header=BB2_4 Depth=1
	s_and_saveexec_b32 s28, s10
	s_cbranch_execz .LBB2_22
; %bb.21:                               ;   in Loop: Header=BB2_4 Depth=1
	global_load_b128 v[14:17], v[12:13], off
	v_add_co_u32 v18, vcc_lo, s0, v10
	s_wait_alu 0xfffd
	v_add_co_ci_u32_e64 v19, null, s1, v11, vcc_lo
	v_mov_b32_e32 v3, v2
	global_load_b64 v[0:1], v[18:19], off offset:1024
	s_wait_loadcnt 0x1
	v_mul_f64_e32 v[16:17], v[16:17], v[16:17]
	s_delay_alu instid0(VALU_DEP_1) | instskip(SKIP_1) | instid1(VALU_DEP_1)
	v_fma_f64 v[14:15], v[14:15], v[14:15], v[16:17]
	s_wait_loadcnt 0x0
	v_fma_f64 v[0:1], s[20:21], v[14:15], v[0:1]
	global_store_b128 v[18:19], v[0:3], off offset:1024
.LBB2_22:                               ;   in Loop: Header=BB2_4 Depth=1
	s_or_b32 exec_lo, exec_lo, s28
	s_delay_alu instid0(SALU_CYCLE_1)
	s_and_not1_b32 s26, s26, exec_lo
	s_or_b32 exec_lo, exec_lo, s27
	s_and_saveexec_b32 s27, s26
	s_cbranch_execz .LBB2_3
.LBB2_23:                               ;   in Loop: Header=BB2_4 Depth=1
	v_add_co_u32 v0, vcc_lo, s2, v6
	s_wait_alu 0xfffd
	v_add_co_ci_u32_e64 v1, null, s3, v7, vcc_lo
	s_clause 0x1
	global_load_b128 v[14:17], v[0:1], off
	global_load_b128 v[18:21], v[12:13], off
	v_add_co_u32 v0, vcc_lo, s0, v10
	s_wait_alu 0xfffd
	v_add_co_ci_u32_e64 v1, null, s1, v11, vcc_lo
	global_load_b128 v[22:25], v[0:1], off offset:1024
	s_wait_loadcnt 0x2
	v_mul_f64_e32 v[12:13], s[20:21], v[16:17]
	v_mul_f64_e32 v[14:15], s[20:21], v[14:15]
	s_wait_loadcnt 0x1
	s_delay_alu instid0(VALU_DEP_2) | instskip(NEXT) | instid1(VALU_DEP_2)
	v_mul_f64_e32 v[16:17], v[12:13], v[20:21]
	v_mul_f64_e32 v[20:21], v[14:15], v[20:21]
	s_delay_alu instid0(VALU_DEP_2) | instskip(NEXT) | instid1(VALU_DEP_2)
	v_fma_f64 v[14:15], v[14:15], v[18:19], v[16:17]
	v_fma_f64 v[16:17], v[18:19], v[12:13], -v[20:21]
	s_wait_loadcnt 0x0
	s_delay_alu instid0(VALU_DEP_2) | instskip(NEXT) | instid1(VALU_DEP_2)
	v_add_f64_e32 v[12:13], v[22:23], v[14:15]
	v_add_f64_e32 v[14:15], v[16:17], v[24:25]
	global_store_b128 v[0:1], v[12:15], off offset:1024
	s_branch .LBB2_3
.LBB2_24:
	s_endpgm
	.section	.rodata,"a",@progbits
	.p2align	6, 0x0
	.amdhsa_kernel _ZL18rocblas_hpr_kernelILi64ELi16ELi2EPKdPK19rocblas_complex_numIdEPS3_EvbiT2_T3_lllT4_lli
		.amdhsa_group_segment_fixed_size 0
		.amdhsa_private_segment_fixed_size 0
		.amdhsa_kernarg_size 76
		.amdhsa_user_sgpr_count 2
		.amdhsa_user_sgpr_dispatch_ptr 0
		.amdhsa_user_sgpr_queue_ptr 0
		.amdhsa_user_sgpr_kernarg_segment_ptr 1
		.amdhsa_user_sgpr_dispatch_id 0
		.amdhsa_user_sgpr_private_segment_size 0
		.amdhsa_wavefront_size32 1
		.amdhsa_uses_dynamic_stack 0
		.amdhsa_enable_private_segment 0
		.amdhsa_system_sgpr_workgroup_id_x 1
		.amdhsa_system_sgpr_workgroup_id_y 1
		.amdhsa_system_sgpr_workgroup_id_z 1
		.amdhsa_system_sgpr_workgroup_info 0
		.amdhsa_system_vgpr_workitem_id 1
		.amdhsa_next_free_vgpr 28
		.amdhsa_next_free_sgpr 30
		.amdhsa_reserve_vcc 1
		.amdhsa_float_round_mode_32 0
		.amdhsa_float_round_mode_16_64 0
		.amdhsa_float_denorm_mode_32 3
		.amdhsa_float_denorm_mode_16_64 3
		.amdhsa_fp16_overflow 0
		.amdhsa_workgroup_processor_mode 1
		.amdhsa_memory_ordered 1
		.amdhsa_forward_progress 1
		.amdhsa_inst_pref_size 11
		.amdhsa_round_robin_scheduling 0
		.amdhsa_exception_fp_ieee_invalid_op 0
		.amdhsa_exception_fp_denorm_src 0
		.amdhsa_exception_fp_ieee_div_zero 0
		.amdhsa_exception_fp_ieee_overflow 0
		.amdhsa_exception_fp_ieee_underflow 0
		.amdhsa_exception_fp_ieee_inexact 0
		.amdhsa_exception_int_div_zero 0
	.end_amdhsa_kernel
	.section	.text._ZL18rocblas_hpr_kernelILi64ELi16ELi2EPKdPK19rocblas_complex_numIdEPS3_EvbiT2_T3_lllT4_lli,"axG",@progbits,_ZL18rocblas_hpr_kernelILi64ELi16ELi2EPKdPK19rocblas_complex_numIdEPS3_EvbiT2_T3_lllT4_lli,comdat
.Lfunc_end2:
	.size	_ZL18rocblas_hpr_kernelILi64ELi16ELi2EPKdPK19rocblas_complex_numIdEPS3_EvbiT2_T3_lllT4_lli, .Lfunc_end2-_ZL18rocblas_hpr_kernelILi64ELi16ELi2EPKdPK19rocblas_complex_numIdEPS3_EvbiT2_T3_lllT4_lli
                                        ; -- End function
	.set _ZL18rocblas_hpr_kernelILi64ELi16ELi2EPKdPK19rocblas_complex_numIdEPS3_EvbiT2_T3_lllT4_lli.num_vgpr, 28
	.set _ZL18rocblas_hpr_kernelILi64ELi16ELi2EPKdPK19rocblas_complex_numIdEPS3_EvbiT2_T3_lllT4_lli.num_agpr, 0
	.set _ZL18rocblas_hpr_kernelILi64ELi16ELi2EPKdPK19rocblas_complex_numIdEPS3_EvbiT2_T3_lllT4_lli.numbered_sgpr, 30
	.set _ZL18rocblas_hpr_kernelILi64ELi16ELi2EPKdPK19rocblas_complex_numIdEPS3_EvbiT2_T3_lllT4_lli.num_named_barrier, 0
	.set _ZL18rocblas_hpr_kernelILi64ELi16ELi2EPKdPK19rocblas_complex_numIdEPS3_EvbiT2_T3_lllT4_lli.private_seg_size, 0
	.set _ZL18rocblas_hpr_kernelILi64ELi16ELi2EPKdPK19rocblas_complex_numIdEPS3_EvbiT2_T3_lllT4_lli.uses_vcc, 1
	.set _ZL18rocblas_hpr_kernelILi64ELi16ELi2EPKdPK19rocblas_complex_numIdEPS3_EvbiT2_T3_lllT4_lli.uses_flat_scratch, 0
	.set _ZL18rocblas_hpr_kernelILi64ELi16ELi2EPKdPK19rocblas_complex_numIdEPS3_EvbiT2_T3_lllT4_lli.has_dyn_sized_stack, 0
	.set _ZL18rocblas_hpr_kernelILi64ELi16ELi2EPKdPK19rocblas_complex_numIdEPS3_EvbiT2_T3_lllT4_lli.has_recursion, 0
	.set _ZL18rocblas_hpr_kernelILi64ELi16ELi2EPKdPK19rocblas_complex_numIdEPS3_EvbiT2_T3_lllT4_lli.has_indirect_call, 0
	.section	.AMDGPU.csdata,"",@progbits
; Kernel info:
; codeLenInByte = 1352
; TotalNumSgprs: 32
; NumVgprs: 28
; ScratchSize: 0
; MemoryBound: 0
; FloatMode: 240
; IeeeMode: 1
; LDSByteSize: 0 bytes/workgroup (compile time only)
; SGPRBlocks: 0
; VGPRBlocks: 3
; NumSGPRsForWavesPerEU: 32
; NumVGPRsForWavesPerEU: 28
; Occupancy: 16
; WaveLimiterHint : 0
; COMPUTE_PGM_RSRC2:SCRATCH_EN: 0
; COMPUTE_PGM_RSRC2:USER_SGPR: 2
; COMPUTE_PGM_RSRC2:TRAP_HANDLER: 0
; COMPUTE_PGM_RSRC2:TGID_X_EN: 1
; COMPUTE_PGM_RSRC2:TGID_Y_EN: 1
; COMPUTE_PGM_RSRC2:TGID_Z_EN: 1
; COMPUTE_PGM_RSRC2:TIDIG_COMP_CNT: 1
	.section	.text._ZL18rocblas_hpr_kernelILi64ELi16ELi2EdPK19rocblas_complex_numIdEPS1_EvbiT2_T3_lllT4_lli,"axG",@progbits,_ZL18rocblas_hpr_kernelILi64ELi16ELi2EdPK19rocblas_complex_numIdEPS1_EvbiT2_T3_lllT4_lli,comdat
	.globl	_ZL18rocblas_hpr_kernelILi64ELi16ELi2EdPK19rocblas_complex_numIdEPS1_EvbiT2_T3_lllT4_lli ; -- Begin function _ZL18rocblas_hpr_kernelILi64ELi16ELi2EdPK19rocblas_complex_numIdEPS1_EvbiT2_T3_lllT4_lli
	.p2align	8
	.type	_ZL18rocblas_hpr_kernelILi64ELi16ELi2EdPK19rocblas_complex_numIdEPS1_EvbiT2_T3_lllT4_lli,@function
_ZL18rocblas_hpr_kernelILi64ELi16ELi2EdPK19rocblas_complex_numIdEPS1_EvbiT2_T3_lllT4_lli: ; @_ZL18rocblas_hpr_kernelILi64ELi16ELi2EdPK19rocblas_complex_numIdEPS1_EvbiT2_T3_lllT4_lli
; %bb.0:
	s_load_b512 s[12:27], s[0:1], 0x8
	s_wait_kmcnt 0x0
	v_cmp_eq_f64_e64 s2, s[12:13], 0
	s_and_b32 vcc_lo, exec_lo, s2
	s_cbranch_vccnz .LBB3_24
; %bb.1:
	s_load_b32 s11, s[0:1], 0x48
	s_lshr_b32 s28, ttmp7, 16
	s_wait_kmcnt 0x0
	s_cmp_ge_u32 s28, s11
	s_cbranch_scc1 .LBB3_24
; %bb.2:
	s_load_b64 s[4:5], s[0:1], 0x0
	v_dual_mov_b32 v2, 0 :: v_dual_and_b32 v1, 0x3ff, v0
	s_lshl_b64 s[0:1], s[16:17], 4
	s_lshl_b64 s[2:3], s[24:25], 4
	v_bfe_u32 v3, v0, 10, 10
	s_delay_alu instid0(VALU_DEP_2) | instskip(SKIP_3) | instid1(VALU_DEP_1)
	v_lshl_add_u32 v11, ttmp9, 7, v1
	s_add_nc_u64 s[14:15], s[14:15], s[0:1]
	s_add_nc_u64 s[16:17], s[22:23], s[2:3]
	s_mov_b32 s29, 0
	v_ashrrev_i32_e32 v4, 31, v11
	v_add_nc_u32_e32 v12, 64, v11
	v_mul_lo_u32 v5, s19, v11
	v_mad_co_u64_u32 v[0:1], null, s18, v11, 0
	s_delay_alu instid0(VALU_DEP_4) | instskip(NEXT) | instid1(VALU_DEP_4)
	v_mul_lo_u32 v4, s18, v4
	v_ashrrev_i32_e32 v8, 31, v12
	v_mul_lo_u32 v13, s19, v12
	v_mad_co_u64_u32 v[6:7], null, s18, v12, 0
	s_wait_kmcnt 0x0
	s_bitcmp1_b32 s4, 0
	v_mul_lo_u32 v14, s18, v8
	s_cselect_b32 vcc_lo, -1, 0
	s_and_b32 s0, ttmp7, 0xffff
	s_lshl_b32 s1, s5, 1
	s_wait_alu 0xfffe
	v_lshl_add_u32 v3, s0, 4, v3
	v_add3_u32 v1, v1, v4, v5
	v_cmp_gt_i32_e64 s0, s5, v11
	v_cmp_gt_i32_e64 s2, s5, v12
	v_add3_u32 v7, v7, v14, v13
	v_sub_nc_u32_e32 v10, s1, v3
	v_mad_co_u64_u32 v[8:9], null, v3, v3, v[3:4]
	v_ashrrev_i32_e32 v13, 31, v3
	v_cmp_le_i32_e64 s1, s5, v11
	s_delay_alu instid0(VALU_DEP_4)
	v_mad_co_u64_u32 v[9:10], null, v3, v10, v[3:4]
	v_lshlrev_b64_e32 v[4:5], 4, v[0:1]
	v_sub_nc_u32_e32 v10, v11, v3
	v_lshrrev_b32_e32 v0, 31, v8
	v_cmp_le_i32_e64 s3, s5, v3
	v_cmp_gt_i32_e64 s4, s5, v3
	v_mul_lo_u32 v14, s19, v3
	v_lshrrev_b32_e32 v1, 31, v9
	v_add_nc_u32_e32 v8, v8, v0
	v_cmp_le_i32_e64 s5, v11, v3
	v_cmp_lt_i32_e64 s6, v11, v3
	v_cmp_eq_u32_e64 s7, v11, v3
	v_add_nc_u32_e32 v9, v9, v1
	v_ashrrev_i32_e32 v8, 1, v8
	v_mad_co_u64_u32 v[0:1], null, s18, v3, 0
	v_cmp_lt_i32_e64 s8, v3, v12
	s_delay_alu instid0(VALU_DEP_4) | instskip(NEXT) | instid1(VALU_DEP_4)
	v_ashrrev_i32_e32 v9, 1, v9
	v_add_nc_u32_e32 v8, v8, v11
	v_mul_lo_u32 v11, s18, v13
	v_cmp_ge_i32_e64 s9, v12, v3
	v_cmp_eq_u32_e64 s10, v12, v3
	v_add_nc_u32_e32 v9, v10, v9
	v_lshlrev_b64_e32 v[6:7], 4, v[6:7]
	s_and_b32 s4, s6, s4
	s_and_b32 s6, s7, s0
	;; [unrolled: 1-line block ×3, first 2 shown]
	v_cndmask_b32_e32 v10, v9, v8, vcc_lo
	v_add3_u32 v1, v1, v11, v14
	s_or_b32 s5, s5, s1
	s_wait_alu 0xfffe
	s_xor_b32 s8, s4, -1
	s_xor_b32 s18, s7, -1
	v_ashrrev_i32_e32 v11, 31, v10
	v_lshlrev_b64_e32 v[8:9], 4, v[0:1]
	s_xor_b32 s19, vcc_lo, -1
	s_or_b32 s9, s3, s9
	s_and_b32 s10, s10, s2
	v_lshlrev_b64_e32 v[10:11], 4, v[10:11]
	s_branch .LBB3_4
.LBB3_3:                                ;   in Loop: Header=BB3_4 Depth=1
	s_or_b32 exec_lo, exec_lo, s23
	s_add_co_i32 s28, s28, 0x10000
	s_delay_alu instid0(SALU_CYCLE_1)
	s_cmp_lt_u32 s28, s11
	s_cbranch_scc0 .LBB3_24
.LBB3_4:                                ; =>This Inner Loop Header: Depth=1
	s_wait_alu 0xfffe
	s_and_b32 vcc_lo, exec_lo, s19
	s_mov_b32 s23, 0
	s_mov_b32 s22, 0
	s_mov_b32 s0, -1
	s_wait_alu 0xfffe
	s_cbranch_vccz .LBB3_6
; %bb.5:                                ;   in Loop: Header=BB3_4 Depth=1
	s_mov_b32 s0, 0
	s_mov_b32 s22, -1
	s_and_b32 s23, s5, exec_lo
.LBB3_6:                                ;   in Loop: Header=BB3_4 Depth=1
	s_wait_alu 0xfffe
	s_and_not1_b32 vcc_lo, exec_lo, s0
	s_wait_alu 0xfffe
	s_cbranch_vccnz .LBB3_8
; %bb.7:                                ;   in Loop: Header=BB3_4 Depth=1
	s_and_not1_b32 s0, s22, exec_lo
	s_and_b32 s1, s4, exec_lo
	s_and_not1_b32 s2, s23, exec_lo
	s_and_b32 s3, s8, exec_lo
	s_wait_alu 0xfffe
	s_or_b32 s22, s0, s1
	s_or_b32 s23, s2, s3
.LBB3_8:                                ;   in Loop: Header=BB3_4 Depth=1
	s_mul_u64 s[0:1], s[20:21], s[28:29]
	s_mul_u64 s[2:3], s[26:27], s[28:29]
	s_wait_alu 0xfffe
	s_lshl_b64 s[0:1], s[0:1], 4
	s_lshl_b64 s[24:25], s[2:3], 4
	s_wait_alu 0xfffe
	s_add_nc_u64 s[2:3], s[14:15], s[0:1]
	s_add_nc_u64 s[0:1], s[16:17], s[24:25]
	s_and_saveexec_b32 s24, s23
	s_delay_alu instid0(SALU_CYCLE_1)
	s_xor_b32 s23, exec_lo, s24
	s_cbranch_execz .LBB3_12
; %bb.9:                                ;   in Loop: Header=BB3_4 Depth=1
	s_and_saveexec_b32 s24, s6
	s_cbranch_execz .LBB3_11
; %bb.10:                               ;   in Loop: Header=BB3_4 Depth=1
	s_wait_alu 0xfffe
	v_add_co_u32 v0, vcc_lo, s2, v4
	s_wait_alu 0xfffd
	v_add_co_ci_u32_e64 v1, null, s3, v5, vcc_lo
	v_add_co_u32 v16, vcc_lo, s0, v10
	s_wait_alu 0xfffd
	v_add_co_ci_u32_e64 v17, null, s1, v11, vcc_lo
	global_load_b128 v[12:15], v[0:1], off
	v_mov_b32_e32 v3, v2
	global_load_b64 v[0:1], v[16:17], off
	s_wait_loadcnt 0x1
	v_mul_f64_e32 v[14:15], v[14:15], v[14:15]
	s_delay_alu instid0(VALU_DEP_1) | instskip(SKIP_1) | instid1(VALU_DEP_1)
	v_fma_f64 v[12:13], v[12:13], v[12:13], v[14:15]
	s_wait_loadcnt 0x0
	v_fma_f64 v[0:1], s[12:13], v[12:13], v[0:1]
	global_store_b128 v[16:17], v[0:3], off
.LBB3_11:                               ;   in Loop: Header=BB3_4 Depth=1
	s_or_b32 exec_lo, exec_lo, s24
	s_delay_alu instid0(SALU_CYCLE_1)
	s_and_not1_b32 s22, s22, exec_lo
.LBB3_12:                               ;   in Loop: Header=BB3_4 Depth=1
	s_or_b32 exec_lo, exec_lo, s23
	s_wait_alu 0xfffe
	v_add_co_u32 v12, vcc_lo, s2, v8
	s_wait_alu 0xfffd
	v_add_co_ci_u32_e64 v13, null, s3, v9, vcc_lo
	s_and_saveexec_b32 s23, s22
	s_cbranch_execz .LBB3_14
; %bb.13:                               ;   in Loop: Header=BB3_4 Depth=1
	v_add_co_u32 v0, vcc_lo, s2, v4
	s_wait_alu 0xfffd
	v_add_co_ci_u32_e64 v1, null, s3, v5, vcc_lo
	s_clause 0x1
	global_load_b128 v[14:17], v[0:1], off
	global_load_b128 v[18:21], v[12:13], off
	v_add_co_u32 v0, vcc_lo, s0, v10
	s_wait_alu 0xfffd
	v_add_co_ci_u32_e64 v1, null, s1, v11, vcc_lo
	global_load_b128 v[22:25], v[0:1], off
	s_wait_loadcnt 0x2
	v_mul_f64_e32 v[16:17], s[12:13], v[16:17]
	v_mul_f64_e32 v[14:15], s[12:13], v[14:15]
	s_wait_loadcnt 0x1
	s_delay_alu instid0(VALU_DEP_2) | instskip(NEXT) | instid1(VALU_DEP_2)
	v_mul_f64_e32 v[26:27], v[16:17], v[20:21]
	v_mul_f64_e32 v[20:21], v[14:15], v[20:21]
	s_delay_alu instid0(VALU_DEP_2) | instskip(NEXT) | instid1(VALU_DEP_2)
	v_fma_f64 v[14:15], v[14:15], v[18:19], v[26:27]
	v_fma_f64 v[16:17], v[18:19], v[16:17], -v[20:21]
	s_wait_loadcnt 0x0
	s_delay_alu instid0(VALU_DEP_2) | instskip(NEXT) | instid1(VALU_DEP_2)
	v_add_f64_e32 v[14:15], v[22:23], v[14:15]
	v_add_f64_e32 v[16:17], v[16:17], v[24:25]
	global_store_b128 v[0:1], v[14:17], off
.LBB3_14:                               ;   in Loop: Header=BB3_4 Depth=1
	s_or_b32 exec_lo, exec_lo, s23
	s_delay_alu instid0(SALU_CYCLE_1)
	s_and_not1_b32 vcc_lo, exec_lo, s19
	s_wait_alu 0xfffe
	s_cbranch_vccnz .LBB3_19
; %bb.15:                               ;   in Loop: Header=BB3_4 Depth=1
	s_and_b32 s22, s7, exec_lo
	s_and_b32 s24, s18, exec_lo
	s_cbranch_execnz .LBB3_17
.LBB3_16:                               ;   in Loop: Header=BB3_4 Depth=1
	s_and_not1_b32 s23, s24, exec_lo
	s_and_b32 s24, s9, exec_lo
	s_or_b32 s22, s22, exec_lo
	s_or_b32 s24, s23, s24
.LBB3_17:                               ;   in Loop: Header=BB3_4 Depth=1
	s_delay_alu instid0(SALU_CYCLE_1)
	s_and_saveexec_b32 s23, s24
	s_cbranch_execnz .LBB3_20
; %bb.18:                               ;   in Loop: Header=BB3_4 Depth=1
	s_or_b32 exec_lo, exec_lo, s23
	s_and_saveexec_b32 s23, s22
	s_cbranch_execz .LBB3_3
	s_branch .LBB3_23
.LBB3_19:                               ;   in Loop: Header=BB3_4 Depth=1
	s_mov_b32 s24, 0
	s_mov_b32 s22, 0
	s_branch .LBB3_16
.LBB3_20:                               ;   in Loop: Header=BB3_4 Depth=1
	s_and_saveexec_b32 s24, s10
	s_cbranch_execz .LBB3_22
; %bb.21:                               ;   in Loop: Header=BB3_4 Depth=1
	global_load_b128 v[14:17], v[12:13], off
	v_add_co_u32 v18, vcc_lo, s0, v10
	s_wait_alu 0xfffd
	v_add_co_ci_u32_e64 v19, null, s1, v11, vcc_lo
	v_mov_b32_e32 v3, v2
	global_load_b64 v[0:1], v[18:19], off offset:1024
	s_wait_loadcnt 0x1
	v_mul_f64_e32 v[16:17], v[16:17], v[16:17]
	s_delay_alu instid0(VALU_DEP_1) | instskip(SKIP_1) | instid1(VALU_DEP_1)
	v_fma_f64 v[14:15], v[14:15], v[14:15], v[16:17]
	s_wait_loadcnt 0x0
	v_fma_f64 v[0:1], s[12:13], v[14:15], v[0:1]
	global_store_b128 v[18:19], v[0:3], off offset:1024
.LBB3_22:                               ;   in Loop: Header=BB3_4 Depth=1
	s_or_b32 exec_lo, exec_lo, s24
	s_delay_alu instid0(SALU_CYCLE_1)
	s_and_not1_b32 s22, s22, exec_lo
	s_or_b32 exec_lo, exec_lo, s23
	s_and_saveexec_b32 s23, s22
	s_cbranch_execz .LBB3_3
.LBB3_23:                               ;   in Loop: Header=BB3_4 Depth=1
	v_add_co_u32 v0, vcc_lo, s2, v6
	s_wait_alu 0xfffd
	v_add_co_ci_u32_e64 v1, null, s3, v7, vcc_lo
	s_clause 0x1
	global_load_b128 v[14:17], v[0:1], off
	global_load_b128 v[18:21], v[12:13], off
	v_add_co_u32 v0, vcc_lo, s0, v10
	s_wait_alu 0xfffd
	v_add_co_ci_u32_e64 v1, null, s1, v11, vcc_lo
	global_load_b128 v[22:25], v[0:1], off offset:1024
	s_wait_loadcnt 0x2
	v_mul_f64_e32 v[12:13], s[12:13], v[16:17]
	v_mul_f64_e32 v[14:15], s[12:13], v[14:15]
	s_wait_loadcnt 0x1
	s_delay_alu instid0(VALU_DEP_2) | instskip(NEXT) | instid1(VALU_DEP_2)
	v_mul_f64_e32 v[16:17], v[12:13], v[20:21]
	v_mul_f64_e32 v[20:21], v[14:15], v[20:21]
	s_delay_alu instid0(VALU_DEP_2) | instskip(NEXT) | instid1(VALU_DEP_2)
	v_fma_f64 v[14:15], v[14:15], v[18:19], v[16:17]
	v_fma_f64 v[16:17], v[18:19], v[12:13], -v[20:21]
	s_wait_loadcnt 0x0
	s_delay_alu instid0(VALU_DEP_2) | instskip(NEXT) | instid1(VALU_DEP_2)
	v_add_f64_e32 v[12:13], v[22:23], v[14:15]
	v_add_f64_e32 v[14:15], v[16:17], v[24:25]
	global_store_b128 v[0:1], v[12:15], off offset:1024
	s_branch .LBB3_3
.LBB3_24:
	s_endpgm
	.section	.rodata,"a",@progbits
	.p2align	6, 0x0
	.amdhsa_kernel _ZL18rocblas_hpr_kernelILi64ELi16ELi2EdPK19rocblas_complex_numIdEPS1_EvbiT2_T3_lllT4_lli
		.amdhsa_group_segment_fixed_size 0
		.amdhsa_private_segment_fixed_size 0
		.amdhsa_kernarg_size 76
		.amdhsa_user_sgpr_count 2
		.amdhsa_user_sgpr_dispatch_ptr 0
		.amdhsa_user_sgpr_queue_ptr 0
		.amdhsa_user_sgpr_kernarg_segment_ptr 1
		.amdhsa_user_sgpr_dispatch_id 0
		.amdhsa_user_sgpr_private_segment_size 0
		.amdhsa_wavefront_size32 1
		.amdhsa_uses_dynamic_stack 0
		.amdhsa_enable_private_segment 0
		.amdhsa_system_sgpr_workgroup_id_x 1
		.amdhsa_system_sgpr_workgroup_id_y 1
		.amdhsa_system_sgpr_workgroup_id_z 1
		.amdhsa_system_sgpr_workgroup_info 0
		.amdhsa_system_vgpr_workitem_id 1
		.amdhsa_next_free_vgpr 28
		.amdhsa_next_free_sgpr 30
		.amdhsa_reserve_vcc 1
		.amdhsa_float_round_mode_32 0
		.amdhsa_float_round_mode_16_64 0
		.amdhsa_float_denorm_mode_32 3
		.amdhsa_float_denorm_mode_16_64 3
		.amdhsa_fp16_overflow 0
		.amdhsa_workgroup_processor_mode 1
		.amdhsa_memory_ordered 1
		.amdhsa_forward_progress 1
		.amdhsa_inst_pref_size 11
		.amdhsa_round_robin_scheduling 0
		.amdhsa_exception_fp_ieee_invalid_op 0
		.amdhsa_exception_fp_denorm_src 0
		.amdhsa_exception_fp_ieee_div_zero 0
		.amdhsa_exception_fp_ieee_overflow 0
		.amdhsa_exception_fp_ieee_underflow 0
		.amdhsa_exception_fp_ieee_inexact 0
		.amdhsa_exception_int_div_zero 0
	.end_amdhsa_kernel
	.section	.text._ZL18rocblas_hpr_kernelILi64ELi16ELi2EdPK19rocblas_complex_numIdEPS1_EvbiT2_T3_lllT4_lli,"axG",@progbits,_ZL18rocblas_hpr_kernelILi64ELi16ELi2EdPK19rocblas_complex_numIdEPS1_EvbiT2_T3_lllT4_lli,comdat
.Lfunc_end3:
	.size	_ZL18rocblas_hpr_kernelILi64ELi16ELi2EdPK19rocblas_complex_numIdEPS1_EvbiT2_T3_lllT4_lli, .Lfunc_end3-_ZL18rocblas_hpr_kernelILi64ELi16ELi2EdPK19rocblas_complex_numIdEPS1_EvbiT2_T3_lllT4_lli
                                        ; -- End function
	.set _ZL18rocblas_hpr_kernelILi64ELi16ELi2EdPK19rocblas_complex_numIdEPS1_EvbiT2_T3_lllT4_lli.num_vgpr, 28
	.set _ZL18rocblas_hpr_kernelILi64ELi16ELi2EdPK19rocblas_complex_numIdEPS1_EvbiT2_T3_lllT4_lli.num_agpr, 0
	.set _ZL18rocblas_hpr_kernelILi64ELi16ELi2EdPK19rocblas_complex_numIdEPS1_EvbiT2_T3_lllT4_lli.numbered_sgpr, 30
	.set _ZL18rocblas_hpr_kernelILi64ELi16ELi2EdPK19rocblas_complex_numIdEPS1_EvbiT2_T3_lllT4_lli.num_named_barrier, 0
	.set _ZL18rocblas_hpr_kernelILi64ELi16ELi2EdPK19rocblas_complex_numIdEPS1_EvbiT2_T3_lllT4_lli.private_seg_size, 0
	.set _ZL18rocblas_hpr_kernelILi64ELi16ELi2EdPK19rocblas_complex_numIdEPS1_EvbiT2_T3_lllT4_lli.uses_vcc, 1
	.set _ZL18rocblas_hpr_kernelILi64ELi16ELi2EdPK19rocblas_complex_numIdEPS1_EvbiT2_T3_lllT4_lli.uses_flat_scratch, 0
	.set _ZL18rocblas_hpr_kernelILi64ELi16ELi2EdPK19rocblas_complex_numIdEPS1_EvbiT2_T3_lllT4_lli.has_dyn_sized_stack, 0
	.set _ZL18rocblas_hpr_kernelILi64ELi16ELi2EdPK19rocblas_complex_numIdEPS1_EvbiT2_T3_lllT4_lli.has_recursion, 0
	.set _ZL18rocblas_hpr_kernelILi64ELi16ELi2EdPK19rocblas_complex_numIdEPS1_EvbiT2_T3_lllT4_lli.has_indirect_call, 0
	.section	.AMDGPU.csdata,"",@progbits
; Kernel info:
; codeLenInByte = 1344
; TotalNumSgprs: 32
; NumVgprs: 28
; ScratchSize: 0
; MemoryBound: 0
; FloatMode: 240
; IeeeMode: 1
; LDSByteSize: 0 bytes/workgroup (compile time only)
; SGPRBlocks: 0
; VGPRBlocks: 3
; NumSGPRsForWavesPerEU: 32
; NumVGPRsForWavesPerEU: 28
; Occupancy: 16
; WaveLimiterHint : 0
; COMPUTE_PGM_RSRC2:SCRATCH_EN: 0
; COMPUTE_PGM_RSRC2:USER_SGPR: 2
; COMPUTE_PGM_RSRC2:TRAP_HANDLER: 0
; COMPUTE_PGM_RSRC2:TGID_X_EN: 1
; COMPUTE_PGM_RSRC2:TGID_Y_EN: 1
; COMPUTE_PGM_RSRC2:TGID_Z_EN: 1
; COMPUTE_PGM_RSRC2:TIDIG_COMP_CNT: 1
	.section	.text._ZL18rocblas_hpr_kernelILi64ELi16ELi2EPKfPKPK19rocblas_complex_numIfEPKPS3_EvbiT2_T3_lllT4_lli,"axG",@progbits,_ZL18rocblas_hpr_kernelILi64ELi16ELi2EPKfPKPK19rocblas_complex_numIfEPKPS3_EvbiT2_T3_lllT4_lli,comdat
	.globl	_ZL18rocblas_hpr_kernelILi64ELi16ELi2EPKfPKPK19rocblas_complex_numIfEPKPS3_EvbiT2_T3_lllT4_lli ; -- Begin function _ZL18rocblas_hpr_kernelILi64ELi16ELi2EPKfPKPK19rocblas_complex_numIfEPKPS3_EvbiT2_T3_lllT4_lli
	.p2align	8
	.type	_ZL18rocblas_hpr_kernelILi64ELi16ELi2EPKfPKPK19rocblas_complex_numIfEPKPS3_EvbiT2_T3_lllT4_lli,@function
_ZL18rocblas_hpr_kernelILi64ELi16ELi2EPKfPKPK19rocblas_complex_numIfEPKPS3_EvbiT2_T3_lllT4_lli: ; @_ZL18rocblas_hpr_kernelILi64ELi16ELi2EPKfPKPK19rocblas_complex_numIfEPKPS3_EvbiT2_T3_lllT4_lli
; %bb.0:
	s_load_b256 s[12:19], s[0:1], 0x8
	s_wait_kmcnt 0x0
	s_load_b32 s11, s[12:13], 0x0
	s_wait_kmcnt 0x0
	s_cmp_eq_f32 s11, 0
	s_cbranch_scc1 .LBB4_24
; %bb.1:
	s_load_b32 s24, s[0:1], 0x48
	s_lshr_b32 s12, ttmp7, 16
	s_wait_kmcnt 0x0
	s_cmp_ge_u32 s12, s24
	s_cbranch_scc1 .LBB4_24
; %bb.2:
	s_clause 0x1
	s_load_b64 s[4:5], s[0:1], 0x0
	s_load_b128 s[20:23], s[0:1], 0x30
	v_and_b32_e32 v1, 0x3ff, v0
	v_bfe_u32 v0, v0, 10, 10
	s_mov_b32 s13, 0
	s_delay_alu instid0(VALU_DEP_2) | instskip(SKIP_1) | instid1(VALU_DEP_2)
	v_lshl_add_u32 v10, ttmp9, 7, v1
	v_mov_b32_e32 v1, 0
	v_ashrrev_i32_e32 v4, 31, v10
	v_mul_lo_u32 v6, s19, v10
	v_mad_co_u64_u32 v[2:3], null, s18, v10, 0
	s_delay_alu instid0(VALU_DEP_3)
	v_mul_lo_u32 v7, s18, v4
	s_wait_kmcnt 0x0
	s_bitcmp1_b32 s4, 0
	v_cmp_gt_i32_e64 s0, s5, v10
	s_cselect_b32 vcc_lo, -1, 0
	s_and_b32 s1, ttmp7, 0xffff
	v_add_nc_u32_e32 v11, 64, v10
	s_wait_alu 0xfffe
	v_lshl_add_u32 v0, s1, 4, v0
	v_add3_u32 v3, v3, v7, v6
	s_lshl_b32 s3, s5, 1
	v_cmp_le_i32_e64 s1, s5, v10
	v_ashrrev_i32_e32 v8, 31, v11
	v_mad_co_u64_u32 v[6:7], null, v0, v0, v[0:1]
	v_mul_lo_u32 v9, s19, v11
	v_mad_co_u64_u32 v[4:5], null, s18, v11, 0
	s_delay_alu instid0(VALU_DEP_4)
	v_mul_lo_u32 v12, s18, v8
	v_sub_nc_u32_e32 v8, s3, v0
	v_ashrrev_i32_e32 v13, 31, v0
	v_lshrrev_b32_e32 v14, 31, v6
	v_cmp_gt_i32_e64 s2, s5, v11
	v_cmp_le_i32_e64 s3, s5, v0
	v_cmp_gt_i32_e64 s4, s5, v0
	v_mul_lo_u32 v16, s19, v0
	v_add_nc_u32_e32 v6, v6, v14
	v_mad_co_u64_u32 v[7:8], null, v0, v8, v[0:1]
	v_add3_u32 v5, v5, v12, v9
	v_sub_nc_u32_e32 v12, v10, v0
	s_delay_alu instid0(VALU_DEP_4)
	v_ashrrev_i32_e32 v6, 1, v6
	v_mad_co_u64_u32 v[8:9], null, s18, v0, 0
	v_cmp_le_i32_e64 s5, v10, v0
	v_lshrrev_b32_e32 v15, 31, v7
	v_cmp_lt_i32_e64 s6, v10, v0
	v_cmp_eq_u32_e64 s7, v10, v0
	v_cmp_lt_i32_e64 s8, v0, v11
	v_cmp_ge_i32_e64 s9, v11, v0
	v_add_nc_u32_e32 v7, v7, v15
	v_cmp_eq_u32_e64 s10, v11, v0
	v_add_nc_u32_e32 v0, v6, v10
	v_lshlrev_b64_e32 v[2:3], 3, v[2:3]
	v_lshlrev_b64_e32 v[4:5], 3, v[4:5]
	v_ashrrev_i32_e32 v7, 1, v7
	s_and_b32 s4, s6, s4
	s_and_b32 s6, s7, s0
	;; [unrolled: 1-line block ×3, first 2 shown]
	s_or_b32 s5, s5, s1
	v_add_nc_u32_e32 v6, v12, v7
	v_mul_lo_u32 v7, s18, v13
	s_or_b32 s8, s3, s9
	s_and_b32 s9, s10, s2
	s_wait_alu 0xfffe
	s_xor_b32 s10, s4, -1
	v_cndmask_b32_e32 v10, v6, v0, vcc_lo
	s_xor_b32 s18, s7, -1
	s_xor_b32 s19, vcc_lo, -1
	s_lshl_b64 s[0:1], s[16:17], 3
	v_add3_u32 v9, v9, v7, v16
	v_ashrrev_i32_e32 v11, 31, v10
	s_lshl_b64 s[2:3], s[22:23], 3
	s_delay_alu instid0(VALU_DEP_2) | instskip(NEXT) | instid1(VALU_DEP_2)
	v_lshlrev_b64_e32 v[6:7], 3, v[8:9]
	v_lshlrev_b64_e32 v[8:9], 3, v[10:11]
	s_branch .LBB4_4
.LBB4_3:                                ;   in Loop: Header=BB4_4 Depth=1
	s_or_b32 exec_lo, exec_lo, s17
	s_add_co_i32 s12, s12, 0x10000
	s_delay_alu instid0(SALU_CYCLE_1)
	s_cmp_lt_u32 s12, s24
	s_cbranch_scc0 .LBB4_24
.LBB4_4:                                ; =>This Inner Loop Header: Depth=1
	s_lshl_b64 s[16:17], s[12:13], 3
	s_wait_alu 0xfffe
	s_and_b32 vcc_lo, exec_lo, s19
	s_add_nc_u64 s[22:23], s[14:15], s[16:17]
	s_add_nc_u64 s[16:17], s[20:21], s[16:17]
	s_clause 0x1
	global_load_b64 v[12:13], v1, s[22:23]
	global_load_b64 v[10:11], v1, s[16:17]
	s_mov_b32 s17, 0
	s_mov_b32 s16, 0
	s_mov_b32 s22, -1
	s_wait_alu 0xfffe
	s_cbranch_vccz .LBB4_6
; %bb.5:                                ;   in Loop: Header=BB4_4 Depth=1
	s_mov_b32 s22, 0
	s_mov_b32 s16, -1
	s_and_b32 s17, s5, exec_lo
.LBB4_6:                                ;   in Loop: Header=BB4_4 Depth=1
	s_and_not1_b32 vcc_lo, exec_lo, s22
	s_wait_alu 0xfffe
	s_cbranch_vccnz .LBB4_8
; %bb.7:                                ;   in Loop: Header=BB4_4 Depth=1
	s_and_not1_b32 s16, s16, exec_lo
	s_and_b32 s22, s4, exec_lo
	s_and_not1_b32 s17, s17, exec_lo
	s_and_b32 s23, s10, exec_lo
	s_or_b32 s16, s16, s22
	s_or_b32 s17, s17, s23
.LBB4_8:                                ;   in Loop: Header=BB4_4 Depth=1
	s_wait_loadcnt 0x1
	v_add_co_u32 v14, vcc_lo, v12, s0
	s_wait_alu 0xfffd
	v_add_co_ci_u32_e64 v15, null, s1, v13, vcc_lo
	s_wait_loadcnt 0x0
	v_add_co_u32 v12, vcc_lo, v10, s2
	s_wait_alu 0xfffd
	v_add_co_ci_u32_e64 v13, null, s3, v11, vcc_lo
	s_and_saveexec_b32 s22, s17
	s_delay_alu instid0(SALU_CYCLE_1)
	s_xor_b32 s17, exec_lo, s22
	s_cbranch_execz .LBB4_12
; %bb.9:                                ;   in Loop: Header=BB4_4 Depth=1
	s_and_saveexec_b32 s22, s6
	s_cbranch_execz .LBB4_11
; %bb.10:                               ;   in Loop: Header=BB4_4 Depth=1
	v_add_co_u32 v10, vcc_lo, v14, v2
	s_wait_alu 0xfffd
	v_add_co_ci_u32_e64 v11, null, v15, v3, vcc_lo
	v_add_co_u32 v16, vcc_lo, v12, v8
	s_wait_alu 0xfffd
	v_add_co_ci_u32_e64 v17, null, v13, v9, vcc_lo
	flat_load_b64 v[10:11], v[10:11]
	flat_load_b32 v0, v[16:17]
	s_wait_loadcnt_dscnt 0x101
	v_mul_f32_e32 v11, v11, v11
	s_delay_alu instid0(VALU_DEP_1) | instskip(SKIP_1) | instid1(VALU_DEP_1)
	v_fmac_f32_e32 v11, v10, v10
	s_wait_loadcnt_dscnt 0x0
	v_fmac_f32_e32 v0, s11, v11
	flat_store_b64 v[16:17], v[0:1]
.LBB4_11:                               ;   in Loop: Header=BB4_4 Depth=1
	s_or_b32 exec_lo, exec_lo, s22
	s_delay_alu instid0(SALU_CYCLE_1)
	s_and_not1_b32 s16, s16, exec_lo
.LBB4_12:                               ;   in Loop: Header=BB4_4 Depth=1
	s_or_b32 exec_lo, exec_lo, s17
	v_add_co_u32 v10, vcc_lo, v14, v6
	s_wait_alu 0xfffd
	v_add_co_ci_u32_e64 v11, null, v15, v7, vcc_lo
	s_and_saveexec_b32 s17, s16
	s_cbranch_execz .LBB4_14
; %bb.13:                               ;   in Loop: Header=BB4_4 Depth=1
	v_add_co_u32 v16, vcc_lo, v14, v2
	s_wait_alu 0xfffd
	v_add_co_ci_u32_e64 v17, null, v15, v3, vcc_lo
	v_add_co_u32 v20, vcc_lo, v12, v8
	s_wait_alu 0xfffd
	v_add_co_ci_u32_e64 v21, null, v13, v9, vcc_lo
	s_clause 0x1
	flat_load_b64 v[16:17], v[16:17]
	flat_load_b64 v[18:19], v[10:11]
	;; [unrolled: 1-line block ×3, first 2 shown]
	s_wait_loadcnt_dscnt 0x202
	v_mul_f32_e32 v16, s11, v16
	v_mul_f32_e32 v0, s11, v17
	s_wait_loadcnt_dscnt 0x101
	s_delay_alu instid0(VALU_DEP_1) | instskip(NEXT) | instid1(VALU_DEP_3)
	v_mul_f32_e32 v17, v0, v19
	v_mul_f32_e32 v19, v16, v19
	s_delay_alu instid0(VALU_DEP_2) | instskip(NEXT) | instid1(VALU_DEP_2)
	v_fmac_f32_e32 v17, v16, v18
	v_fma_f32 v0, v18, v0, -v19
	s_wait_loadcnt_dscnt 0x0
	s_delay_alu instid0(VALU_DEP_1)
	v_dual_add_f32 v16, v22, v17 :: v_dual_add_f32 v17, v0, v23
	flat_store_b64 v[20:21], v[16:17]
.LBB4_14:                               ;   in Loop: Header=BB4_4 Depth=1
	s_or_b32 exec_lo, exec_lo, s17
	s_delay_alu instid0(SALU_CYCLE_1)
	s_and_not1_b32 vcc_lo, exec_lo, s19
	s_wait_alu 0xfffe
	s_cbranch_vccnz .LBB4_19
; %bb.15:                               ;   in Loop: Header=BB4_4 Depth=1
	s_and_b32 s16, s7, exec_lo
	s_and_b32 s22, s18, exec_lo
	s_cbranch_execnz .LBB4_17
.LBB4_16:                               ;   in Loop: Header=BB4_4 Depth=1
	s_and_not1_b32 s17, s22, exec_lo
	s_and_b32 s22, s8, exec_lo
	s_or_b32 s16, s16, exec_lo
	s_or_b32 s22, s17, s22
.LBB4_17:                               ;   in Loop: Header=BB4_4 Depth=1
	s_delay_alu instid0(SALU_CYCLE_1)
	s_and_saveexec_b32 s17, s22
	s_cbranch_execnz .LBB4_20
; %bb.18:                               ;   in Loop: Header=BB4_4 Depth=1
	s_or_b32 exec_lo, exec_lo, s17
	s_and_saveexec_b32 s17, s16
	s_cbranch_execz .LBB4_3
	s_branch .LBB4_23
.LBB4_19:                               ;   in Loop: Header=BB4_4 Depth=1
	s_mov_b32 s22, 0
	s_mov_b32 s16, 0
	s_branch .LBB4_16
.LBB4_20:                               ;   in Loop: Header=BB4_4 Depth=1
	s_and_saveexec_b32 s22, s9
	s_cbranch_execz .LBB4_22
; %bb.21:                               ;   in Loop: Header=BB4_4 Depth=1
	flat_load_b64 v[16:17], v[10:11]
	v_add_co_u32 v18, vcc_lo, v12, v8
	s_wait_alu 0xfffd
	v_add_co_ci_u32_e64 v19, null, v13, v9, vcc_lo
	flat_load_b32 v0, v[18:19] offset:512
	s_wait_loadcnt_dscnt 0x101
	v_mul_f32_e32 v17, v17, v17
	s_delay_alu instid0(VALU_DEP_1) | instskip(SKIP_1) | instid1(VALU_DEP_1)
	v_fmac_f32_e32 v17, v16, v16
	s_wait_loadcnt_dscnt 0x0
	v_fmac_f32_e32 v0, s11, v17
	flat_store_b64 v[18:19], v[0:1] offset:512
.LBB4_22:                               ;   in Loop: Header=BB4_4 Depth=1
	s_or_b32 exec_lo, exec_lo, s22
	s_delay_alu instid0(SALU_CYCLE_1)
	s_and_not1_b32 s16, s16, exec_lo
	s_or_b32 exec_lo, exec_lo, s17
	s_and_saveexec_b32 s17, s16
	s_cbranch_execz .LBB4_3
.LBB4_23:                               ;   in Loop: Header=BB4_4 Depth=1
	v_add_co_u32 v14, vcc_lo, v14, v4
	s_wait_alu 0xfffd
	v_add_co_ci_u32_e64 v15, null, v15, v5, vcc_lo
	v_add_co_u32 v12, vcc_lo, v12, v8
	s_wait_alu 0xfffd
	v_add_co_ci_u32_e64 v13, null, v13, v9, vcc_lo
	s_clause 0x1
	flat_load_b64 v[14:15], v[14:15]
	flat_load_b64 v[10:11], v[10:11]
	flat_load_b64 v[16:17], v[12:13] offset:512
	s_wait_loadcnt_dscnt 0x202
	v_mul_f32_e32 v14, s11, v14
	v_mul_f32_e32 v0, s11, v15
	s_wait_loadcnt_dscnt 0x101
	s_delay_alu instid0(VALU_DEP_1) | instskip(NEXT) | instid1(VALU_DEP_3)
	v_mul_f32_e32 v15, v0, v11
	v_mul_f32_e32 v11, v14, v11
	s_delay_alu instid0(VALU_DEP_2) | instskip(NEXT) | instid1(VALU_DEP_2)
	v_fmac_f32_e32 v15, v14, v10
	v_fma_f32 v0, v10, v0, -v11
	s_wait_loadcnt_dscnt 0x0
	s_delay_alu instid0(VALU_DEP_2) | instskip(NEXT) | instid1(VALU_DEP_2)
	v_add_f32_e32 v10, v16, v15
	v_add_f32_e32 v11, v0, v17
	flat_store_b64 v[12:13], v[10:11] offset:512
	s_branch .LBB4_3
.LBB4_24:
	s_endpgm
	.section	.rodata,"a",@progbits
	.p2align	6, 0x0
	.amdhsa_kernel _ZL18rocblas_hpr_kernelILi64ELi16ELi2EPKfPKPK19rocblas_complex_numIfEPKPS3_EvbiT2_T3_lllT4_lli
		.amdhsa_group_segment_fixed_size 0
		.amdhsa_private_segment_fixed_size 0
		.amdhsa_kernarg_size 76
		.amdhsa_user_sgpr_count 2
		.amdhsa_user_sgpr_dispatch_ptr 0
		.amdhsa_user_sgpr_queue_ptr 0
		.amdhsa_user_sgpr_kernarg_segment_ptr 1
		.amdhsa_user_sgpr_dispatch_id 0
		.amdhsa_user_sgpr_private_segment_size 0
		.amdhsa_wavefront_size32 1
		.amdhsa_uses_dynamic_stack 0
		.amdhsa_enable_private_segment 0
		.amdhsa_system_sgpr_workgroup_id_x 1
		.amdhsa_system_sgpr_workgroup_id_y 1
		.amdhsa_system_sgpr_workgroup_id_z 1
		.amdhsa_system_sgpr_workgroup_info 0
		.amdhsa_system_vgpr_workitem_id 1
		.amdhsa_next_free_vgpr 24
		.amdhsa_next_free_sgpr 25
		.amdhsa_reserve_vcc 1
		.amdhsa_float_round_mode_32 0
		.amdhsa_float_round_mode_16_64 0
		.amdhsa_float_denorm_mode_32 3
		.amdhsa_float_denorm_mode_16_64 3
		.amdhsa_fp16_overflow 0
		.amdhsa_workgroup_processor_mode 1
		.amdhsa_memory_ordered 1
		.amdhsa_forward_progress 1
		.amdhsa_inst_pref_size 11
		.amdhsa_round_robin_scheduling 0
		.amdhsa_exception_fp_ieee_invalid_op 0
		.amdhsa_exception_fp_denorm_src 0
		.amdhsa_exception_fp_ieee_div_zero 0
		.amdhsa_exception_fp_ieee_overflow 0
		.amdhsa_exception_fp_ieee_underflow 0
		.amdhsa_exception_fp_ieee_inexact 0
		.amdhsa_exception_int_div_zero 0
	.end_amdhsa_kernel
	.section	.text._ZL18rocblas_hpr_kernelILi64ELi16ELi2EPKfPKPK19rocblas_complex_numIfEPKPS3_EvbiT2_T3_lllT4_lli,"axG",@progbits,_ZL18rocblas_hpr_kernelILi64ELi16ELi2EPKfPKPK19rocblas_complex_numIfEPKPS3_EvbiT2_T3_lllT4_lli,comdat
.Lfunc_end4:
	.size	_ZL18rocblas_hpr_kernelILi64ELi16ELi2EPKfPKPK19rocblas_complex_numIfEPKPS3_EvbiT2_T3_lllT4_lli, .Lfunc_end4-_ZL18rocblas_hpr_kernelILi64ELi16ELi2EPKfPKPK19rocblas_complex_numIfEPKPS3_EvbiT2_T3_lllT4_lli
                                        ; -- End function
	.set _ZL18rocblas_hpr_kernelILi64ELi16ELi2EPKfPKPK19rocblas_complex_numIfEPKPS3_EvbiT2_T3_lllT4_lli.num_vgpr, 24
	.set _ZL18rocblas_hpr_kernelILi64ELi16ELi2EPKfPKPK19rocblas_complex_numIfEPKPS3_EvbiT2_T3_lllT4_lli.num_agpr, 0
	.set _ZL18rocblas_hpr_kernelILi64ELi16ELi2EPKfPKPK19rocblas_complex_numIfEPKPS3_EvbiT2_T3_lllT4_lli.numbered_sgpr, 25
	.set _ZL18rocblas_hpr_kernelILi64ELi16ELi2EPKfPKPK19rocblas_complex_numIfEPKPS3_EvbiT2_T3_lllT4_lli.num_named_barrier, 0
	.set _ZL18rocblas_hpr_kernelILi64ELi16ELi2EPKfPKPK19rocblas_complex_numIfEPKPS3_EvbiT2_T3_lllT4_lli.private_seg_size, 0
	.set _ZL18rocblas_hpr_kernelILi64ELi16ELi2EPKfPKPK19rocblas_complex_numIfEPKPS3_EvbiT2_T3_lllT4_lli.uses_vcc, 1
	.set _ZL18rocblas_hpr_kernelILi64ELi16ELi2EPKfPKPK19rocblas_complex_numIfEPKPS3_EvbiT2_T3_lllT4_lli.uses_flat_scratch, 1
	.set _ZL18rocblas_hpr_kernelILi64ELi16ELi2EPKfPKPK19rocblas_complex_numIfEPKPS3_EvbiT2_T3_lllT4_lli.has_dyn_sized_stack, 0
	.set _ZL18rocblas_hpr_kernelILi64ELi16ELi2EPKfPKPK19rocblas_complex_numIfEPKPS3_EvbiT2_T3_lllT4_lli.has_recursion, 0
	.set _ZL18rocblas_hpr_kernelILi64ELi16ELi2EPKfPKPK19rocblas_complex_numIfEPKPS3_EvbiT2_T3_lllT4_lli.has_indirect_call, 0
	.section	.AMDGPU.csdata,"",@progbits
; Kernel info:
; codeLenInByte = 1364
; TotalNumSgprs: 27
; NumVgprs: 24
; ScratchSize: 0
; MemoryBound: 0
; FloatMode: 240
; IeeeMode: 1
; LDSByteSize: 0 bytes/workgroup (compile time only)
; SGPRBlocks: 0
; VGPRBlocks: 2
; NumSGPRsForWavesPerEU: 27
; NumVGPRsForWavesPerEU: 24
; Occupancy: 16
; WaveLimiterHint : 1
; COMPUTE_PGM_RSRC2:SCRATCH_EN: 0
; COMPUTE_PGM_RSRC2:USER_SGPR: 2
; COMPUTE_PGM_RSRC2:TRAP_HANDLER: 0
; COMPUTE_PGM_RSRC2:TGID_X_EN: 1
; COMPUTE_PGM_RSRC2:TGID_Y_EN: 1
; COMPUTE_PGM_RSRC2:TGID_Z_EN: 1
; COMPUTE_PGM_RSRC2:TIDIG_COMP_CNT: 1
	.section	.text._ZL18rocblas_hpr_kernelILi64ELi16ELi2EfPKPK19rocblas_complex_numIfEPKPS1_EvbiT2_T3_lllT4_lli,"axG",@progbits,_ZL18rocblas_hpr_kernelILi64ELi16ELi2EfPKPK19rocblas_complex_numIfEPKPS1_EvbiT2_T3_lllT4_lli,comdat
	.globl	_ZL18rocblas_hpr_kernelILi64ELi16ELi2EfPKPK19rocblas_complex_numIfEPKPS1_EvbiT2_T3_lllT4_lli ; -- Begin function _ZL18rocblas_hpr_kernelILi64ELi16ELi2EfPKPK19rocblas_complex_numIfEPKPS1_EvbiT2_T3_lllT4_lli
	.p2align	8
	.type	_ZL18rocblas_hpr_kernelILi64ELi16ELi2EfPKPK19rocblas_complex_numIfEPKPS1_EvbiT2_T3_lllT4_lli,@function
_ZL18rocblas_hpr_kernelILi64ELi16ELi2EfPKPK19rocblas_complex_numIfEPKPS1_EvbiT2_T3_lllT4_lli: ; @_ZL18rocblas_hpr_kernelILi64ELi16ELi2EfPKPK19rocblas_complex_numIfEPKPS1_EvbiT2_T3_lllT4_lli
; %bb.0:
	s_load_b96 s[16:18], s[0:1], 0x0
	s_wait_kmcnt 0x0
	s_cmp_eq_f32 s18, 0
	s_cbranch_scc1 .LBB5_24
; %bb.1:
	s_load_b32 s7, s[0:1], 0x48
	s_lshr_b32 s20, ttmp7, 16
	s_wait_kmcnt 0x0
	s_cmp_ge_u32 s20, s7
	s_cbranch_scc1 .LBB5_24
; %bb.2:
	v_bfe_u32 v1, v0, 10, 10
	s_bitcmp1_b32 s16, 0
	s_clause 0x1
	s_load_b64 s[22:23], s[0:1], 0x20
	s_load_b128 s[8:11], s[0:1], 0x10
	s_cselect_b32 vcc_lo, -1, 0
	s_and_b32 s2, ttmp7, 0xffff
	v_and_b32_e32 v0, 0x3ff, v0
	v_lshl_add_u32 v1, s2, 4, v1
	s_lshl_b32 s2, s17, 1
	s_load_b128 s[12:15], s[0:1], 0x30
	s_xor_b32 s24, vcc_lo, -1
	v_lshl_add_u32 v0, ttmp9, 7, v0
	v_mad_co_u64_u32 v[2:3], null, v1, v1, v[1:2]
	v_sub_nc_u32_e32 v4, s2, v1
	v_cmp_gt_i32_e64 s1, s17, v1
	s_delay_alu instid0(VALU_DEP_4)
	v_sub_nc_u32_e32 v6, v0, v1
	v_cmp_gt_i32_e64 s2, s17, v0
	v_cmp_lt_i32_e64 s4, v0, v1
	v_cmp_eq_u32_e64 s6, v0, v1
	v_mad_co_u64_u32 v[3:4], null, v1, v4, v[1:2]
	v_lshrrev_b32_e32 v7, 31, v2
	v_ashrrev_i32_e32 v4, 31, v1
	s_wait_kmcnt 0x0
	v_mul_lo_u32 v10, s23, v1
	v_cmp_le_i32_e64 s3, s17, v0
	v_cmp_le_i32_e64 s5, v0, v1
	v_add_nc_u32_e32 v2, v2, v7
	v_lshrrev_b32_e32 v9, 31, v3
	v_mul_lo_u32 v8, s22, v4
	v_mad_co_u64_u32 v[4:5], null, s22, v1, 0
	s_delay_alu instid0(VALU_DEP_4) | instskip(NEXT) | instid1(VALU_DEP_4)
	v_ashrrev_i32_e32 v2, 1, v2
	v_add_nc_u32_e32 v3, v3, v9
	v_mul_lo_u32 v13, s23, v0
	s_and_b32 s4, s4, s1
	s_and_b32 s6, s6, s2
	v_add_nc_u32_e32 v2, v2, v0
	v_ashrrev_i32_e32 v3, 1, v3
	v_add3_u32 v5, v5, v8, v10
	v_cmp_le_i32_e64 s0, s17, v1
	s_or_b32 s5, s5, s3
	s_xor_b32 s16, s4, -1
	v_add_nc_u32_e32 v3, v6, v3
	v_add_nc_u32_e32 v11, 64, v0
	v_ashrrev_i32_e32 v6, 31, v0
	s_mov_b32 s21, 0
	s_delay_alu instid0(VALU_DEP_3) | instskip(NEXT) | instid1(VALU_DEP_3)
	v_cndmask_b32_e32 v10, v3, v2, vcc_lo
	v_ashrrev_i32_e32 v8, 31, v11
	s_delay_alu instid0(VALU_DEP_3) | instskip(SKIP_2) | instid1(VALU_DEP_4)
	v_mul_lo_u32 v12, s22, v6
	v_mad_co_u64_u32 v[6:7], null, s22, v0, 0
	v_mul_lo_u32 v14, s23, v11
	v_mul_lo_u32 v0, s22, v8
	v_mad_co_u64_u32 v[8:9], null, s22, v11, 0
	v_cmp_gt_i32_e64 s1, s17, v11
	v_cmp_lt_i32_e64 s2, v1, v11
	v_cmp_eq_u32_e64 s3, v11, v1
	v_add3_u32 v7, v7, v12, v13
	v_lshlrev_b64_e32 v[2:3], 3, v[4:5]
	s_and_b32 s17, s1, s2
	v_cmp_ge_i32_e64 s2, v11, v1
	v_ashrrev_i32_e32 v11, 31, v10
	v_add3_u32 v9, v9, v0, v14
	v_lshlrev_b64_e32 v[6:7], 3, v[6:7]
	v_mov_b32_e32 v1, 0
	s_wait_alu 0xfffe
	s_xor_b32 s19, s17, -1
	v_lshlrev_b64_e32 v[4:5], 3, v[10:11]
	v_lshlrev_b64_e32 v[8:9], 3, v[8:9]
	s_or_b32 s22, s0, s2
	s_and_b32 s23, s3, s1
	s_lshl_b64 s[0:1], s[10:11], 3
	s_lshl_b64 s[2:3], s[14:15], 3
	s_branch .LBB5_4
.LBB5_3:                                ;   in Loop: Header=BB5_4 Depth=1
	s_or_b32 exec_lo, exec_lo, s11
	s_add_co_i32 s20, s20, 0x10000
	s_delay_alu instid0(SALU_CYCLE_1)
	s_cmp_lt_u32 s20, s7
	s_cbranch_scc0 .LBB5_24
.LBB5_4:                                ; =>This Inner Loop Header: Depth=1
	s_lshl_b64 s[10:11], s[20:21], 3
	s_and_b32 vcc_lo, exec_lo, s24
	s_add_nc_u64 s[14:15], s[8:9], s[10:11]
	s_add_nc_u64 s[10:11], s[12:13], s[10:11]
	s_clause 0x1
	global_load_b64 v[12:13], v1, s[14:15]
	global_load_b64 v[10:11], v1, s[10:11]
	s_mov_b32 s11, 0
	s_mov_b32 s10, 0
	s_mov_b32 s14, -1
	s_wait_alu 0xfffe
	s_cbranch_vccz .LBB5_6
; %bb.5:                                ;   in Loop: Header=BB5_4 Depth=1
	s_mov_b32 s14, 0
	s_mov_b32 s10, -1
	s_and_b32 s11, s5, exec_lo
.LBB5_6:                                ;   in Loop: Header=BB5_4 Depth=1
	s_and_not1_b32 vcc_lo, exec_lo, s14
	s_wait_alu 0xfffe
	s_cbranch_vccnz .LBB5_8
; %bb.7:                                ;   in Loop: Header=BB5_4 Depth=1
	s_and_not1_b32 s10, s10, exec_lo
	s_and_b32 s14, s4, exec_lo
	s_and_not1_b32 s11, s11, exec_lo
	s_and_b32 s15, s16, exec_lo
	s_or_b32 s10, s10, s14
	s_or_b32 s11, s11, s15
.LBB5_8:                                ;   in Loop: Header=BB5_4 Depth=1
	s_wait_loadcnt 0x1
	v_add_co_u32 v14, vcc_lo, v12, s0
	s_wait_alu 0xfffd
	v_add_co_ci_u32_e64 v15, null, s1, v13, vcc_lo
	s_wait_loadcnt 0x0
	v_add_co_u32 v12, vcc_lo, v10, s2
	s_wait_alu 0xfffd
	v_add_co_ci_u32_e64 v13, null, s3, v11, vcc_lo
	s_and_saveexec_b32 s14, s11
	s_delay_alu instid0(SALU_CYCLE_1)
	s_xor_b32 s11, exec_lo, s14
	s_cbranch_execz .LBB5_12
; %bb.9:                                ;   in Loop: Header=BB5_4 Depth=1
	s_and_saveexec_b32 s14, s6
	s_cbranch_execz .LBB5_11
; %bb.10:                               ;   in Loop: Header=BB5_4 Depth=1
	v_add_co_u32 v10, vcc_lo, v14, v6
	s_wait_alu 0xfffd
	v_add_co_ci_u32_e64 v11, null, v15, v7, vcc_lo
	v_add_co_u32 v16, vcc_lo, v12, v4
	s_wait_alu 0xfffd
	v_add_co_ci_u32_e64 v17, null, v13, v5, vcc_lo
	flat_load_b64 v[10:11], v[10:11]
	flat_load_b32 v0, v[16:17]
	s_wait_loadcnt_dscnt 0x101
	v_mul_f32_e32 v11, v11, v11
	s_delay_alu instid0(VALU_DEP_1) | instskip(SKIP_1) | instid1(VALU_DEP_1)
	v_fmac_f32_e32 v11, v10, v10
	s_wait_loadcnt_dscnt 0x0
	v_fmac_f32_e32 v0, s18, v11
	flat_store_b64 v[16:17], v[0:1]
.LBB5_11:                               ;   in Loop: Header=BB5_4 Depth=1
	s_or_b32 exec_lo, exec_lo, s14
	s_delay_alu instid0(SALU_CYCLE_1)
	s_and_not1_b32 s10, s10, exec_lo
.LBB5_12:                               ;   in Loop: Header=BB5_4 Depth=1
	s_or_b32 exec_lo, exec_lo, s11
	v_add_co_u32 v10, vcc_lo, v14, v2
	s_wait_alu 0xfffd
	v_add_co_ci_u32_e64 v11, null, v15, v3, vcc_lo
	s_and_saveexec_b32 s11, s10
	s_cbranch_execz .LBB5_14
; %bb.13:                               ;   in Loop: Header=BB5_4 Depth=1
	v_add_co_u32 v16, vcc_lo, v14, v6
	s_wait_alu 0xfffd
	v_add_co_ci_u32_e64 v17, null, v15, v7, vcc_lo
	v_add_co_u32 v20, vcc_lo, v12, v4
	s_wait_alu 0xfffd
	v_add_co_ci_u32_e64 v21, null, v13, v5, vcc_lo
	s_clause 0x1
	flat_load_b64 v[16:17], v[16:17]
	flat_load_b64 v[18:19], v[10:11]
	;; [unrolled: 1-line block ×3, first 2 shown]
	s_wait_loadcnt_dscnt 0x202
	v_mul_f32_e32 v16, s18, v16
	v_mul_f32_e32 v0, s18, v17
	s_wait_loadcnt_dscnt 0x101
	s_delay_alu instid0(VALU_DEP_1) | instskip(NEXT) | instid1(VALU_DEP_3)
	v_mul_f32_e32 v17, v0, v19
	v_mul_f32_e32 v19, v16, v19
	s_delay_alu instid0(VALU_DEP_2) | instskip(NEXT) | instid1(VALU_DEP_2)
	v_fmac_f32_e32 v17, v16, v18
	v_fma_f32 v0, v18, v0, -v19
	s_wait_loadcnt_dscnt 0x0
	s_delay_alu instid0(VALU_DEP_1)
	v_dual_add_f32 v16, v22, v17 :: v_dual_add_f32 v17, v0, v23
	flat_store_b64 v[20:21], v[16:17]
.LBB5_14:                               ;   in Loop: Header=BB5_4 Depth=1
	s_or_b32 exec_lo, exec_lo, s11
	s_delay_alu instid0(SALU_CYCLE_1)
	s_and_not1_b32 vcc_lo, exec_lo, s24
	s_wait_alu 0xfffe
	s_cbranch_vccnz .LBB5_19
; %bb.15:                               ;   in Loop: Header=BB5_4 Depth=1
	s_and_b32 s10, s17, exec_lo
	s_and_b32 s14, s19, exec_lo
	s_cbranch_execnz .LBB5_17
.LBB5_16:                               ;   in Loop: Header=BB5_4 Depth=1
	s_and_not1_b32 s11, s14, exec_lo
	s_and_b32 s14, s22, exec_lo
	s_or_b32 s10, s10, exec_lo
	s_or_b32 s14, s11, s14
.LBB5_17:                               ;   in Loop: Header=BB5_4 Depth=1
	s_delay_alu instid0(SALU_CYCLE_1)
	s_and_saveexec_b32 s11, s14
	s_cbranch_execnz .LBB5_20
; %bb.18:                               ;   in Loop: Header=BB5_4 Depth=1
	s_or_b32 exec_lo, exec_lo, s11
	s_and_saveexec_b32 s11, s10
	s_cbranch_execz .LBB5_3
	s_branch .LBB5_23
.LBB5_19:                               ;   in Loop: Header=BB5_4 Depth=1
	s_mov_b32 s14, 0
	s_mov_b32 s10, 0
	s_branch .LBB5_16
.LBB5_20:                               ;   in Loop: Header=BB5_4 Depth=1
	s_and_saveexec_b32 s14, s23
	s_cbranch_execz .LBB5_22
; %bb.21:                               ;   in Loop: Header=BB5_4 Depth=1
	flat_load_b64 v[16:17], v[10:11]
	v_add_co_u32 v18, vcc_lo, v12, v4
	s_wait_alu 0xfffd
	v_add_co_ci_u32_e64 v19, null, v13, v5, vcc_lo
	flat_load_b32 v0, v[18:19] offset:512
	s_wait_loadcnt_dscnt 0x101
	v_mul_f32_e32 v17, v17, v17
	s_delay_alu instid0(VALU_DEP_1) | instskip(SKIP_1) | instid1(VALU_DEP_1)
	v_fmac_f32_e32 v17, v16, v16
	s_wait_loadcnt_dscnt 0x0
	v_fmac_f32_e32 v0, s18, v17
	flat_store_b64 v[18:19], v[0:1] offset:512
.LBB5_22:                               ;   in Loop: Header=BB5_4 Depth=1
	s_or_b32 exec_lo, exec_lo, s14
	s_delay_alu instid0(SALU_CYCLE_1)
	s_and_not1_b32 s10, s10, exec_lo
	s_or_b32 exec_lo, exec_lo, s11
	s_and_saveexec_b32 s11, s10
	s_cbranch_execz .LBB5_3
.LBB5_23:                               ;   in Loop: Header=BB5_4 Depth=1
	v_add_co_u32 v14, vcc_lo, v14, v8
	s_wait_alu 0xfffd
	v_add_co_ci_u32_e64 v15, null, v15, v9, vcc_lo
	v_add_co_u32 v12, vcc_lo, v12, v4
	s_wait_alu 0xfffd
	v_add_co_ci_u32_e64 v13, null, v13, v5, vcc_lo
	s_clause 0x1
	flat_load_b64 v[14:15], v[14:15]
	flat_load_b64 v[10:11], v[10:11]
	flat_load_b64 v[16:17], v[12:13] offset:512
	s_wait_loadcnt_dscnt 0x202
	v_mul_f32_e32 v14, s18, v14
	v_mul_f32_e32 v0, s18, v15
	s_wait_loadcnt_dscnt 0x101
	s_delay_alu instid0(VALU_DEP_1) | instskip(NEXT) | instid1(VALU_DEP_3)
	v_mul_f32_e32 v15, v0, v11
	v_mul_f32_e32 v11, v14, v11
	s_delay_alu instid0(VALU_DEP_2) | instskip(NEXT) | instid1(VALU_DEP_2)
	v_fmac_f32_e32 v15, v14, v10
	v_fma_f32 v0, v10, v0, -v11
	s_wait_loadcnt_dscnt 0x0
	s_delay_alu instid0(VALU_DEP_2) | instskip(NEXT) | instid1(VALU_DEP_2)
	v_add_f32_e32 v10, v16, v15
	v_add_f32_e32 v11, v0, v17
	flat_store_b64 v[12:13], v[10:11] offset:512
	s_branch .LBB5_3
.LBB5_24:
	s_endpgm
	.section	.rodata,"a",@progbits
	.p2align	6, 0x0
	.amdhsa_kernel _ZL18rocblas_hpr_kernelILi64ELi16ELi2EfPKPK19rocblas_complex_numIfEPKPS1_EvbiT2_T3_lllT4_lli
		.amdhsa_group_segment_fixed_size 0
		.amdhsa_private_segment_fixed_size 0
		.amdhsa_kernarg_size 76
		.amdhsa_user_sgpr_count 2
		.amdhsa_user_sgpr_dispatch_ptr 0
		.amdhsa_user_sgpr_queue_ptr 0
		.amdhsa_user_sgpr_kernarg_segment_ptr 1
		.amdhsa_user_sgpr_dispatch_id 0
		.amdhsa_user_sgpr_private_segment_size 0
		.amdhsa_wavefront_size32 1
		.amdhsa_uses_dynamic_stack 0
		.amdhsa_enable_private_segment 0
		.amdhsa_system_sgpr_workgroup_id_x 1
		.amdhsa_system_sgpr_workgroup_id_y 1
		.amdhsa_system_sgpr_workgroup_id_z 1
		.amdhsa_system_sgpr_workgroup_info 0
		.amdhsa_system_vgpr_workitem_id 1
		.amdhsa_next_free_vgpr 24
		.amdhsa_next_free_sgpr 25
		.amdhsa_reserve_vcc 1
		.amdhsa_float_round_mode_32 0
		.amdhsa_float_round_mode_16_64 0
		.amdhsa_float_denorm_mode_32 3
		.amdhsa_float_denorm_mode_16_64 3
		.amdhsa_fp16_overflow 0
		.amdhsa_workgroup_processor_mode 1
		.amdhsa_memory_ordered 1
		.amdhsa_forward_progress 1
		.amdhsa_inst_pref_size 11
		.amdhsa_round_robin_scheduling 0
		.amdhsa_exception_fp_ieee_invalid_op 0
		.amdhsa_exception_fp_denorm_src 0
		.amdhsa_exception_fp_ieee_div_zero 0
		.amdhsa_exception_fp_ieee_overflow 0
		.amdhsa_exception_fp_ieee_underflow 0
		.amdhsa_exception_fp_ieee_inexact 0
		.amdhsa_exception_int_div_zero 0
	.end_amdhsa_kernel
	.section	.text._ZL18rocblas_hpr_kernelILi64ELi16ELi2EfPKPK19rocblas_complex_numIfEPKPS1_EvbiT2_T3_lllT4_lli,"axG",@progbits,_ZL18rocblas_hpr_kernelILi64ELi16ELi2EfPKPK19rocblas_complex_numIfEPKPS1_EvbiT2_T3_lllT4_lli,comdat
.Lfunc_end5:
	.size	_ZL18rocblas_hpr_kernelILi64ELi16ELi2EfPKPK19rocblas_complex_numIfEPKPS1_EvbiT2_T3_lllT4_lli, .Lfunc_end5-_ZL18rocblas_hpr_kernelILi64ELi16ELi2EfPKPK19rocblas_complex_numIfEPKPS1_EvbiT2_T3_lllT4_lli
                                        ; -- End function
	.set _ZL18rocblas_hpr_kernelILi64ELi16ELi2EfPKPK19rocblas_complex_numIfEPKPS1_EvbiT2_T3_lllT4_lli.num_vgpr, 24
	.set _ZL18rocblas_hpr_kernelILi64ELi16ELi2EfPKPK19rocblas_complex_numIfEPKPS1_EvbiT2_T3_lllT4_lli.num_agpr, 0
	.set _ZL18rocblas_hpr_kernelILi64ELi16ELi2EfPKPK19rocblas_complex_numIfEPKPS1_EvbiT2_T3_lllT4_lli.numbered_sgpr, 25
	.set _ZL18rocblas_hpr_kernelILi64ELi16ELi2EfPKPK19rocblas_complex_numIfEPKPS1_EvbiT2_T3_lllT4_lli.num_named_barrier, 0
	.set _ZL18rocblas_hpr_kernelILi64ELi16ELi2EfPKPK19rocblas_complex_numIfEPKPS1_EvbiT2_T3_lllT4_lli.private_seg_size, 0
	.set _ZL18rocblas_hpr_kernelILi64ELi16ELi2EfPKPK19rocblas_complex_numIfEPKPS1_EvbiT2_T3_lllT4_lli.uses_vcc, 1
	.set _ZL18rocblas_hpr_kernelILi64ELi16ELi2EfPKPK19rocblas_complex_numIfEPKPS1_EvbiT2_T3_lllT4_lli.uses_flat_scratch, 1
	.set _ZL18rocblas_hpr_kernelILi64ELi16ELi2EfPKPK19rocblas_complex_numIfEPKPS1_EvbiT2_T3_lllT4_lli.has_dyn_sized_stack, 0
	.set _ZL18rocblas_hpr_kernelILi64ELi16ELi2EfPKPK19rocblas_complex_numIfEPKPS1_EvbiT2_T3_lllT4_lli.has_recursion, 0
	.set _ZL18rocblas_hpr_kernelILi64ELi16ELi2EfPKPK19rocblas_complex_numIfEPKPS1_EvbiT2_T3_lllT4_lli.has_indirect_call, 0
	.section	.AMDGPU.csdata,"",@progbits
; Kernel info:
; codeLenInByte = 1348
; TotalNumSgprs: 27
; NumVgprs: 24
; ScratchSize: 0
; MemoryBound: 0
; FloatMode: 240
; IeeeMode: 1
; LDSByteSize: 0 bytes/workgroup (compile time only)
; SGPRBlocks: 0
; VGPRBlocks: 2
; NumSGPRsForWavesPerEU: 27
; NumVGPRsForWavesPerEU: 24
; Occupancy: 16
; WaveLimiterHint : 1
; COMPUTE_PGM_RSRC2:SCRATCH_EN: 0
; COMPUTE_PGM_RSRC2:USER_SGPR: 2
; COMPUTE_PGM_RSRC2:TRAP_HANDLER: 0
; COMPUTE_PGM_RSRC2:TGID_X_EN: 1
; COMPUTE_PGM_RSRC2:TGID_Y_EN: 1
; COMPUTE_PGM_RSRC2:TGID_Z_EN: 1
; COMPUTE_PGM_RSRC2:TIDIG_COMP_CNT: 1
	.section	.text._ZL18rocblas_hpr_kernelILi64ELi16ELi2EPKdPKPK19rocblas_complex_numIdEPKPS3_EvbiT2_T3_lllT4_lli,"axG",@progbits,_ZL18rocblas_hpr_kernelILi64ELi16ELi2EPKdPKPK19rocblas_complex_numIdEPKPS3_EvbiT2_T3_lllT4_lli,comdat
	.globl	_ZL18rocblas_hpr_kernelILi64ELi16ELi2EPKdPKPK19rocblas_complex_numIdEPKPS3_EvbiT2_T3_lllT4_lli ; -- Begin function _ZL18rocblas_hpr_kernelILi64ELi16ELi2EPKdPKPK19rocblas_complex_numIdEPKPS3_EvbiT2_T3_lllT4_lli
	.p2align	8
	.type	_ZL18rocblas_hpr_kernelILi64ELi16ELi2EPKdPKPK19rocblas_complex_numIdEPKPS3_EvbiT2_T3_lllT4_lli,@function
_ZL18rocblas_hpr_kernelILi64ELi16ELi2EPKdPKPK19rocblas_complex_numIdEPKPS3_EvbiT2_T3_lllT4_lli: ; @_ZL18rocblas_hpr_kernelILi64ELi16ELi2EPKdPKPK19rocblas_complex_numIdEPKPS3_EvbiT2_T3_lllT4_lli
; %bb.0:
	s_load_b256 s[12:19], s[0:1], 0x8
	s_wait_kmcnt 0x0
	s_load_b64 s[12:13], s[12:13], 0x0
	s_wait_kmcnt 0x0
	v_cmp_eq_f64_e64 s2, s[12:13], 0
	s_and_b32 vcc_lo, exec_lo, s2
	s_cbranch_vccnz .LBB6_24
; %bb.1:
	s_load_b32 s11, s[0:1], 0x48
	s_lshr_b32 s24, ttmp7, 16
	s_wait_kmcnt 0x0
	s_cmp_ge_u32 s24, s11
	s_cbranch_scc1 .LBB6_24
; %bb.2:
	s_clause 0x1
	s_load_b64 s[4:5], s[0:1], 0x0
	s_load_b128 s[20:23], s[0:1], 0x30
	v_dual_mov_b32 v2, 0 :: v_dual_and_b32 v1, 0x3ff, v0
	v_bfe_u32 v3, v0, 10, 10
	s_mov_b32 s25, 0
	s_delay_alu instid0(VALU_DEP_2) | instskip(NEXT) | instid1(VALU_DEP_1)
	v_lshl_add_u32 v11, ttmp9, 7, v1
	v_ashrrev_i32_e32 v4, 31, v11
	v_add_nc_u32_e32 v12, 64, v11
	v_mul_lo_u32 v5, s19, v11
	v_mad_co_u64_u32 v[0:1], null, s18, v11, 0
	s_delay_alu instid0(VALU_DEP_4) | instskip(NEXT) | instid1(VALU_DEP_4)
	v_mul_lo_u32 v4, s18, v4
	v_ashrrev_i32_e32 v8, 31, v12
	v_mul_lo_u32 v13, s19, v12
	s_wait_kmcnt 0x0
	s_bitcmp1_b32 s4, 0
	v_mad_co_u64_u32 v[6:7], null, s18, v12, 0
	s_cselect_b32 vcc_lo, -1, 0
	s_and_b32 s1, ttmp7, 0xffff
	s_lshl_b32 s3, s5, 1
	s_wait_alu 0xfffe
	v_lshl_add_u32 v3, s1, 4, v3
	v_mul_lo_u32 v14, s18, v8
	v_add3_u32 v1, v1, v4, v5
	v_cmp_gt_i32_e64 s0, s5, v11
	v_cmp_le_i32_e64 s1, s5, v11
	v_sub_nc_u32_e32 v10, s3, v3
	v_mad_co_u64_u32 v[8:9], null, v3, v3, v[3:4]
	v_cmp_gt_i32_e64 s2, s5, v12
	v_add3_u32 v7, v7, v14, v13
	s_delay_alu instid0(VALU_DEP_4)
	v_mad_co_u64_u32 v[9:10], null, v3, v10, v[3:4]
	v_sub_nc_u32_e32 v10, v11, v3
	v_ashrrev_i32_e32 v13, 31, v3
	v_lshrrev_b32_e32 v14, 31, v8
	v_lshlrev_b64_e32 v[4:5], 4, v[0:1]
	v_cmp_le_i32_e64 s3, s5, v3
	v_cmp_gt_i32_e64 s4, s5, v3
	v_lshrrev_b32_e32 v15, 31, v9
	v_add_nc_u32_e32 v8, v8, v14
	v_mul_lo_u32 v16, s19, v3
	v_mad_co_u64_u32 v[0:1], null, s18, v3, 0
	s_delay_alu instid0(VALU_DEP_4) | instskip(NEXT) | instid1(VALU_DEP_4)
	v_add_nc_u32_e32 v9, v9, v15
	v_ashrrev_i32_e32 v8, 1, v8
	v_cmp_le_i32_e64 s5, v11, v3
	v_cmp_lt_i32_e64 s6, v11, v3
	v_cmp_eq_u32_e64 s7, v11, v3
	v_ashrrev_i32_e32 v9, 1, v9
	v_cmp_lt_i32_e64 s8, v3, v12
	v_cmp_ge_i32_e64 s9, v12, v3
	v_cmp_eq_u32_e64 s10, v12, v3
	v_add_nc_u32_e32 v3, v8, v11
	v_add_nc_u32_e32 v8, v10, v9
	v_mul_lo_u32 v9, s18, v13
	v_lshlrev_b64_e32 v[6:7], 4, v[6:7]
	s_and_b32 s19, s6, s4
	s_and_b32 s8, s2, s8
	v_cndmask_b32_e32 v10, v8, v3, vcc_lo
	s_or_b32 s18, s5, s1
	s_and_b32 s26, s7, s0
	s_or_b32 s9, s3, s9
	v_add3_u32 v1, v1, v9, v16
	v_ashrrev_i32_e32 v11, 31, v10
	s_and_b32 s10, s10, s2
	s_wait_alu 0xfffe
	s_xor_b32 s27, s19, -1
	s_xor_b32 s28, s8, -1
	v_lshlrev_b64_e32 v[8:9], 4, v[0:1]
	v_lshlrev_b64_e32 v[10:11], 4, v[10:11]
	s_xor_b32 s29, vcc_lo, -1
	s_lshl_b64 s[0:1], s[16:17], 4
	s_lshl_b64 s[2:3], s[22:23], 4
	s_branch .LBB6_4
.LBB6_3:                                ;   in Loop: Header=BB6_4 Depth=1
	s_or_b32 exec_lo, exec_lo, s17
	s_add_co_i32 s24, s24, 0x10000
	s_delay_alu instid0(SALU_CYCLE_1)
	s_cmp_lt_u32 s24, s11
	s_cbranch_scc0 .LBB6_24
.LBB6_4:                                ; =>This Inner Loop Header: Depth=1
	s_and_b32 vcc_lo, exec_lo, s29
	s_mov_b32 s17, 0
	s_mov_b32 s16, 0
	s_mov_b32 s4, -1
	s_wait_alu 0xfffe
	s_cbranch_vccz .LBB6_6
; %bb.5:                                ;   in Loop: Header=BB6_4 Depth=1
	s_mov_b32 s4, 0
	s_mov_b32 s16, -1
	s_and_b32 s17, s18, exec_lo
.LBB6_6:                                ;   in Loop: Header=BB6_4 Depth=1
	s_wait_alu 0xfffe
	s_and_not1_b32 vcc_lo, exec_lo, s4
	s_wait_alu 0xfffe
	s_cbranch_vccnz .LBB6_8
; %bb.7:                                ;   in Loop: Header=BB6_4 Depth=1
	s_and_not1_b32 s4, s16, exec_lo
	s_and_b32 s5, s19, exec_lo
	s_and_not1_b32 s6, s17, exec_lo
	s_and_b32 s7, s27, exec_lo
	s_wait_alu 0xfffe
	s_or_b32 s16, s4, s5
	s_or_b32 s17, s6, s7
.LBB6_8:                                ;   in Loop: Header=BB6_4 Depth=1
	s_lshl_b64 s[4:5], s[24:25], 3
	s_wait_alu 0xfffe
	s_add_nc_u64 s[6:7], s[14:15], s[4:5]
	s_add_nc_u64 s[4:5], s[20:21], s[4:5]
	s_load_b64 s[6:7], s[6:7], 0x0
	s_load_b64 s[4:5], s[4:5], 0x0
	s_wait_kmcnt 0x0
	s_add_nc_u64 s[6:7], s[6:7], s[0:1]
	s_add_nc_u64 s[4:5], s[4:5], s[2:3]
	s_and_saveexec_b32 s22, s17
	s_delay_alu instid0(SALU_CYCLE_1)
	s_xor_b32 s17, exec_lo, s22
	s_cbranch_execz .LBB6_12
; %bb.9:                                ;   in Loop: Header=BB6_4 Depth=1
	s_and_saveexec_b32 s22, s26
	s_cbranch_execz .LBB6_11
; %bb.10:                               ;   in Loop: Header=BB6_4 Depth=1
	s_wait_alu 0xfffe
	v_add_co_u32 v0, vcc_lo, s6, v4
	s_wait_alu 0xfffd
	v_add_co_ci_u32_e64 v1, null, s7, v5, vcc_lo
	v_add_co_u32 v16, vcc_lo, s4, v10
	s_wait_alu 0xfffd
	v_add_co_ci_u32_e64 v17, null, s5, v11, vcc_lo
	flat_load_b128 v[12:15], v[0:1]
	v_mov_b32_e32 v3, v2
	flat_load_b64 v[0:1], v[16:17]
	s_wait_loadcnt_dscnt 0x101
	v_mul_f64_e32 v[14:15], v[14:15], v[14:15]
	s_delay_alu instid0(VALU_DEP_1) | instskip(SKIP_1) | instid1(VALU_DEP_1)
	v_fma_f64 v[12:13], v[12:13], v[12:13], v[14:15]
	s_wait_loadcnt_dscnt 0x0
	v_fma_f64 v[0:1], s[12:13], v[12:13], v[0:1]
	flat_store_b128 v[16:17], v[0:3]
.LBB6_11:                               ;   in Loop: Header=BB6_4 Depth=1
	s_or_b32 exec_lo, exec_lo, s22
	s_delay_alu instid0(SALU_CYCLE_1)
	s_and_not1_b32 s16, s16, exec_lo
.LBB6_12:                               ;   in Loop: Header=BB6_4 Depth=1
	s_or_b32 exec_lo, exec_lo, s17
	s_wait_alu 0xfffe
	v_add_co_u32 v12, vcc_lo, s6, v8
	s_wait_alu 0xfffd
	v_add_co_ci_u32_e64 v13, null, s7, v9, vcc_lo
	s_and_saveexec_b32 s17, s16
	s_cbranch_execz .LBB6_14
; %bb.13:                               ;   in Loop: Header=BB6_4 Depth=1
	v_add_co_u32 v0, vcc_lo, s6, v4
	s_wait_alu 0xfffd
	v_add_co_ci_u32_e64 v1, null, s7, v5, vcc_lo
	s_clause 0x1
	flat_load_b128 v[14:17], v[0:1]
	flat_load_b128 v[18:21], v[12:13]
	v_add_co_u32 v0, vcc_lo, s4, v10
	s_wait_alu 0xfffd
	v_add_co_ci_u32_e64 v1, null, s5, v11, vcc_lo
	flat_load_b128 v[22:25], v[0:1]
	s_wait_loadcnt_dscnt 0x202
	v_mul_f64_e32 v[16:17], s[12:13], v[16:17]
	v_mul_f64_e32 v[14:15], s[12:13], v[14:15]
	s_wait_loadcnt_dscnt 0x101
	s_delay_alu instid0(VALU_DEP_2) | instskip(NEXT) | instid1(VALU_DEP_2)
	v_mul_f64_e32 v[26:27], v[16:17], v[20:21]
	v_mul_f64_e32 v[20:21], v[14:15], v[20:21]
	s_delay_alu instid0(VALU_DEP_2) | instskip(NEXT) | instid1(VALU_DEP_2)
	v_fma_f64 v[14:15], v[14:15], v[18:19], v[26:27]
	v_fma_f64 v[16:17], v[18:19], v[16:17], -v[20:21]
	s_wait_loadcnt_dscnt 0x0
	s_delay_alu instid0(VALU_DEP_2) | instskip(NEXT) | instid1(VALU_DEP_2)
	v_add_f64_e32 v[14:15], v[22:23], v[14:15]
	v_add_f64_e32 v[16:17], v[16:17], v[24:25]
	flat_store_b128 v[0:1], v[14:17]
.LBB6_14:                               ;   in Loop: Header=BB6_4 Depth=1
	s_or_b32 exec_lo, exec_lo, s17
	s_delay_alu instid0(SALU_CYCLE_1)
	s_and_not1_b32 vcc_lo, exec_lo, s29
	s_wait_alu 0xfffe
	s_cbranch_vccnz .LBB6_19
; %bb.15:                               ;   in Loop: Header=BB6_4 Depth=1
	s_and_b32 s16, s8, exec_lo
	s_and_b32 s22, s28, exec_lo
	s_cbranch_execnz .LBB6_17
.LBB6_16:                               ;   in Loop: Header=BB6_4 Depth=1
	s_and_not1_b32 s17, s22, exec_lo
	s_and_b32 s22, s9, exec_lo
	s_or_b32 s16, s16, exec_lo
	s_or_b32 s22, s17, s22
.LBB6_17:                               ;   in Loop: Header=BB6_4 Depth=1
	s_delay_alu instid0(SALU_CYCLE_1)
	s_and_saveexec_b32 s17, s22
	s_cbranch_execnz .LBB6_20
; %bb.18:                               ;   in Loop: Header=BB6_4 Depth=1
	s_or_b32 exec_lo, exec_lo, s17
	s_and_saveexec_b32 s17, s16
	s_cbranch_execz .LBB6_3
	s_branch .LBB6_23
.LBB6_19:                               ;   in Loop: Header=BB6_4 Depth=1
	s_mov_b32 s22, 0
	s_mov_b32 s16, 0
	s_branch .LBB6_16
.LBB6_20:                               ;   in Loop: Header=BB6_4 Depth=1
	s_and_saveexec_b32 s22, s10
	s_cbranch_execz .LBB6_22
; %bb.21:                               ;   in Loop: Header=BB6_4 Depth=1
	flat_load_b128 v[14:17], v[12:13]
	v_add_co_u32 v18, vcc_lo, s4, v10
	s_wait_alu 0xfffd
	v_add_co_ci_u32_e64 v19, null, s5, v11, vcc_lo
	v_mov_b32_e32 v3, v2
	flat_load_b64 v[0:1], v[18:19] offset:1024
	s_wait_loadcnt_dscnt 0x101
	v_mul_f64_e32 v[16:17], v[16:17], v[16:17]
	s_delay_alu instid0(VALU_DEP_1) | instskip(SKIP_1) | instid1(VALU_DEP_1)
	v_fma_f64 v[14:15], v[14:15], v[14:15], v[16:17]
	s_wait_loadcnt_dscnt 0x0
	v_fma_f64 v[0:1], s[12:13], v[14:15], v[0:1]
	flat_store_b128 v[18:19], v[0:3] offset:1024
.LBB6_22:                               ;   in Loop: Header=BB6_4 Depth=1
	s_or_b32 exec_lo, exec_lo, s22
	s_delay_alu instid0(SALU_CYCLE_1)
	s_and_not1_b32 s16, s16, exec_lo
	s_or_b32 exec_lo, exec_lo, s17
	s_and_saveexec_b32 s17, s16
	s_cbranch_execz .LBB6_3
.LBB6_23:                               ;   in Loop: Header=BB6_4 Depth=1
	v_add_co_u32 v0, vcc_lo, s6, v6
	s_wait_alu 0xfffd
	v_add_co_ci_u32_e64 v1, null, s7, v7, vcc_lo
	s_clause 0x1
	flat_load_b128 v[14:17], v[0:1]
	flat_load_b128 v[18:21], v[12:13]
	v_add_co_u32 v0, vcc_lo, s4, v10
	s_wait_alu 0xfffd
	v_add_co_ci_u32_e64 v1, null, s5, v11, vcc_lo
	flat_load_b128 v[22:25], v[0:1] offset:1024
	s_wait_loadcnt_dscnt 0x202
	v_mul_f64_e32 v[12:13], s[12:13], v[16:17]
	v_mul_f64_e32 v[14:15], s[12:13], v[14:15]
	s_wait_loadcnt_dscnt 0x101
	s_delay_alu instid0(VALU_DEP_2) | instskip(NEXT) | instid1(VALU_DEP_2)
	v_mul_f64_e32 v[16:17], v[12:13], v[20:21]
	v_mul_f64_e32 v[20:21], v[14:15], v[20:21]
	s_delay_alu instid0(VALU_DEP_2) | instskip(NEXT) | instid1(VALU_DEP_2)
	v_fma_f64 v[14:15], v[14:15], v[18:19], v[16:17]
	v_fma_f64 v[16:17], v[18:19], v[12:13], -v[20:21]
	s_wait_loadcnt_dscnt 0x0
	s_delay_alu instid0(VALU_DEP_2) | instskip(NEXT) | instid1(VALU_DEP_2)
	v_add_f64_e32 v[12:13], v[22:23], v[14:15]
	v_add_f64_e32 v[14:15], v[16:17], v[24:25]
	flat_store_b128 v[0:1], v[12:15] offset:1024
	s_branch .LBB6_3
.LBB6_24:
	s_endpgm
	.section	.rodata,"a",@progbits
	.p2align	6, 0x0
	.amdhsa_kernel _ZL18rocblas_hpr_kernelILi64ELi16ELi2EPKdPKPK19rocblas_complex_numIdEPKPS3_EvbiT2_T3_lllT4_lli
		.amdhsa_group_segment_fixed_size 0
		.amdhsa_private_segment_fixed_size 0
		.amdhsa_kernarg_size 76
		.amdhsa_user_sgpr_count 2
		.amdhsa_user_sgpr_dispatch_ptr 0
		.amdhsa_user_sgpr_queue_ptr 0
		.amdhsa_user_sgpr_kernarg_segment_ptr 1
		.amdhsa_user_sgpr_dispatch_id 0
		.amdhsa_user_sgpr_private_segment_size 0
		.amdhsa_wavefront_size32 1
		.amdhsa_uses_dynamic_stack 0
		.amdhsa_enable_private_segment 0
		.amdhsa_system_sgpr_workgroup_id_x 1
		.amdhsa_system_sgpr_workgroup_id_y 1
		.amdhsa_system_sgpr_workgroup_id_z 1
		.amdhsa_system_sgpr_workgroup_info 0
		.amdhsa_system_vgpr_workitem_id 1
		.amdhsa_next_free_vgpr 28
		.amdhsa_next_free_sgpr 30
		.amdhsa_reserve_vcc 1
		.amdhsa_float_round_mode_32 0
		.amdhsa_float_round_mode_16_64 0
		.amdhsa_float_denorm_mode_32 3
		.amdhsa_float_denorm_mode_16_64 3
		.amdhsa_fp16_overflow 0
		.amdhsa_workgroup_processor_mode 1
		.amdhsa_memory_ordered 1
		.amdhsa_forward_progress 1
		.amdhsa_inst_pref_size 11
		.amdhsa_round_robin_scheduling 0
		.amdhsa_exception_fp_ieee_invalid_op 0
		.amdhsa_exception_fp_denorm_src 0
		.amdhsa_exception_fp_ieee_div_zero 0
		.amdhsa_exception_fp_ieee_overflow 0
		.amdhsa_exception_fp_ieee_underflow 0
		.amdhsa_exception_fp_ieee_inexact 0
		.amdhsa_exception_int_div_zero 0
	.end_amdhsa_kernel
	.section	.text._ZL18rocblas_hpr_kernelILi64ELi16ELi2EPKdPKPK19rocblas_complex_numIdEPKPS3_EvbiT2_T3_lllT4_lli,"axG",@progbits,_ZL18rocblas_hpr_kernelILi64ELi16ELi2EPKdPKPK19rocblas_complex_numIdEPKPS3_EvbiT2_T3_lllT4_lli,comdat
.Lfunc_end6:
	.size	_ZL18rocblas_hpr_kernelILi64ELi16ELi2EPKdPKPK19rocblas_complex_numIdEPKPS3_EvbiT2_T3_lllT4_lli, .Lfunc_end6-_ZL18rocblas_hpr_kernelILi64ELi16ELi2EPKdPKPK19rocblas_complex_numIdEPKPS3_EvbiT2_T3_lllT4_lli
                                        ; -- End function
	.set _ZL18rocblas_hpr_kernelILi64ELi16ELi2EPKdPKPK19rocblas_complex_numIdEPKPS3_EvbiT2_T3_lllT4_lli.num_vgpr, 28
	.set _ZL18rocblas_hpr_kernelILi64ELi16ELi2EPKdPKPK19rocblas_complex_numIdEPKPS3_EvbiT2_T3_lllT4_lli.num_agpr, 0
	.set _ZL18rocblas_hpr_kernelILi64ELi16ELi2EPKdPKPK19rocblas_complex_numIdEPKPS3_EvbiT2_T3_lllT4_lli.numbered_sgpr, 30
	.set _ZL18rocblas_hpr_kernelILi64ELi16ELi2EPKdPKPK19rocblas_complex_numIdEPKPS3_EvbiT2_T3_lllT4_lli.num_named_barrier, 0
	.set _ZL18rocblas_hpr_kernelILi64ELi16ELi2EPKdPKPK19rocblas_complex_numIdEPKPS3_EvbiT2_T3_lllT4_lli.private_seg_size, 0
	.set _ZL18rocblas_hpr_kernelILi64ELi16ELi2EPKdPKPK19rocblas_complex_numIdEPKPS3_EvbiT2_T3_lllT4_lli.uses_vcc, 1
	.set _ZL18rocblas_hpr_kernelILi64ELi16ELi2EPKdPKPK19rocblas_complex_numIdEPKPS3_EvbiT2_T3_lllT4_lli.uses_flat_scratch, 1
	.set _ZL18rocblas_hpr_kernelILi64ELi16ELi2EPKdPKPK19rocblas_complex_numIdEPKPS3_EvbiT2_T3_lllT4_lli.has_dyn_sized_stack, 0
	.set _ZL18rocblas_hpr_kernelILi64ELi16ELi2EPKdPKPK19rocblas_complex_numIdEPKPS3_EvbiT2_T3_lllT4_lli.has_recursion, 0
	.set _ZL18rocblas_hpr_kernelILi64ELi16ELi2EPKdPKPK19rocblas_complex_numIdEPKPS3_EvbiT2_T3_lllT4_lli.has_indirect_call, 0
	.section	.AMDGPU.csdata,"",@progbits
; Kernel info:
; codeLenInByte = 1368
; TotalNumSgprs: 32
; NumVgprs: 28
; ScratchSize: 0
; MemoryBound: 0
; FloatMode: 240
; IeeeMode: 1
; LDSByteSize: 0 bytes/workgroup (compile time only)
; SGPRBlocks: 0
; VGPRBlocks: 3
; NumSGPRsForWavesPerEU: 32
; NumVGPRsForWavesPerEU: 28
; Occupancy: 16
; WaveLimiterHint : 1
; COMPUTE_PGM_RSRC2:SCRATCH_EN: 0
; COMPUTE_PGM_RSRC2:USER_SGPR: 2
; COMPUTE_PGM_RSRC2:TRAP_HANDLER: 0
; COMPUTE_PGM_RSRC2:TGID_X_EN: 1
; COMPUTE_PGM_RSRC2:TGID_Y_EN: 1
; COMPUTE_PGM_RSRC2:TGID_Z_EN: 1
; COMPUTE_PGM_RSRC2:TIDIG_COMP_CNT: 1
	.section	.text._ZL18rocblas_hpr_kernelILi64ELi16ELi2EdPKPK19rocblas_complex_numIdEPKPS1_EvbiT2_T3_lllT4_lli,"axG",@progbits,_ZL18rocblas_hpr_kernelILi64ELi16ELi2EdPKPK19rocblas_complex_numIdEPKPS1_EvbiT2_T3_lllT4_lli,comdat
	.globl	_ZL18rocblas_hpr_kernelILi64ELi16ELi2EdPKPK19rocblas_complex_numIdEPKPS1_EvbiT2_T3_lllT4_lli ; -- Begin function _ZL18rocblas_hpr_kernelILi64ELi16ELi2EdPKPK19rocblas_complex_numIdEPKPS1_EvbiT2_T3_lllT4_lli
	.p2align	8
	.type	_ZL18rocblas_hpr_kernelILi64ELi16ELi2EdPKPK19rocblas_complex_numIdEPKPS1_EvbiT2_T3_lllT4_lli,@function
_ZL18rocblas_hpr_kernelILi64ELi16ELi2EdPKPK19rocblas_complex_numIdEPKPS1_EvbiT2_T3_lllT4_lli: ; @_ZL18rocblas_hpr_kernelILi64ELi16ELi2EdPKPK19rocblas_complex_numIdEPKPS1_EvbiT2_T3_lllT4_lli
; %bb.0:
	s_load_b256 s[12:19], s[0:1], 0x8
	s_wait_kmcnt 0x0
	v_cmp_eq_f64_e64 s2, s[12:13], 0
	s_and_b32 vcc_lo, exec_lo, s2
	s_cbranch_vccnz .LBB7_24
; %bb.1:
	s_load_b32 s11, s[0:1], 0x48
	s_lshr_b32 s24, ttmp7, 16
	s_wait_kmcnt 0x0
	s_cmp_ge_u32 s24, s11
	s_cbranch_scc1 .LBB7_24
; %bb.2:
	s_clause 0x1
	s_load_b64 s[4:5], s[0:1], 0x0
	s_load_b128 s[20:23], s[0:1], 0x30
	v_dual_mov_b32 v2, 0 :: v_dual_and_b32 v1, 0x3ff, v0
	v_bfe_u32 v3, v0, 10, 10
	s_mov_b32 s25, 0
	s_delay_alu instid0(VALU_DEP_2) | instskip(NEXT) | instid1(VALU_DEP_1)
	v_lshl_add_u32 v11, ttmp9, 7, v1
	v_ashrrev_i32_e32 v4, 31, v11
	v_add_nc_u32_e32 v12, 64, v11
	v_mul_lo_u32 v5, s19, v11
	v_mad_co_u64_u32 v[0:1], null, s18, v11, 0
	s_delay_alu instid0(VALU_DEP_4) | instskip(NEXT) | instid1(VALU_DEP_4)
	v_mul_lo_u32 v4, s18, v4
	v_ashrrev_i32_e32 v8, 31, v12
	v_mul_lo_u32 v13, s19, v12
	s_wait_kmcnt 0x0
	s_bitcmp1_b32 s4, 0
	v_mad_co_u64_u32 v[6:7], null, s18, v12, 0
	s_cselect_b32 vcc_lo, -1, 0
	s_and_b32 s1, ttmp7, 0xffff
	s_lshl_b32 s3, s5, 1
	s_wait_alu 0xfffe
	v_lshl_add_u32 v3, s1, 4, v3
	v_mul_lo_u32 v14, s18, v8
	v_add3_u32 v1, v1, v4, v5
	v_cmp_gt_i32_e64 s0, s5, v11
	v_cmp_le_i32_e64 s1, s5, v11
	v_sub_nc_u32_e32 v10, s3, v3
	v_mad_co_u64_u32 v[8:9], null, v3, v3, v[3:4]
	v_cmp_gt_i32_e64 s2, s5, v12
	v_add3_u32 v7, v7, v14, v13
	s_delay_alu instid0(VALU_DEP_4)
	v_mad_co_u64_u32 v[9:10], null, v3, v10, v[3:4]
	v_sub_nc_u32_e32 v10, v11, v3
	v_ashrrev_i32_e32 v13, 31, v3
	v_lshrrev_b32_e32 v14, 31, v8
	v_lshlrev_b64_e32 v[4:5], 4, v[0:1]
	v_cmp_le_i32_e64 s3, s5, v3
	v_cmp_gt_i32_e64 s4, s5, v3
	v_lshrrev_b32_e32 v15, 31, v9
	v_add_nc_u32_e32 v8, v8, v14
	v_mul_lo_u32 v16, s19, v3
	v_mad_co_u64_u32 v[0:1], null, s18, v3, 0
	s_delay_alu instid0(VALU_DEP_4) | instskip(NEXT) | instid1(VALU_DEP_4)
	v_add_nc_u32_e32 v9, v9, v15
	v_ashrrev_i32_e32 v8, 1, v8
	v_cmp_le_i32_e64 s5, v11, v3
	v_cmp_lt_i32_e64 s6, v11, v3
	v_cmp_eq_u32_e64 s7, v11, v3
	v_ashrrev_i32_e32 v9, 1, v9
	v_cmp_lt_i32_e64 s8, v3, v12
	v_cmp_ge_i32_e64 s9, v12, v3
	v_cmp_eq_u32_e64 s10, v12, v3
	v_add_nc_u32_e32 v3, v8, v11
	v_add_nc_u32_e32 v8, v10, v9
	v_mul_lo_u32 v9, s18, v13
	v_lshlrev_b64_e32 v[6:7], 4, v[6:7]
	s_and_b32 s19, s6, s4
	s_and_b32 s8, s2, s8
	v_cndmask_b32_e32 v10, v8, v3, vcc_lo
	s_or_b32 s18, s5, s1
	s_and_b32 s26, s7, s0
	s_or_b32 s9, s3, s9
	v_add3_u32 v1, v1, v9, v16
	v_ashrrev_i32_e32 v11, 31, v10
	s_and_b32 s10, s10, s2
	s_wait_alu 0xfffe
	s_xor_b32 s27, s19, -1
	s_xor_b32 s28, s8, -1
	v_lshlrev_b64_e32 v[8:9], 4, v[0:1]
	v_lshlrev_b64_e32 v[10:11], 4, v[10:11]
	s_xor_b32 s29, vcc_lo, -1
	s_lshl_b64 s[0:1], s[16:17], 4
	s_lshl_b64 s[2:3], s[22:23], 4
	s_branch .LBB7_4
.LBB7_3:                                ;   in Loop: Header=BB7_4 Depth=1
	s_or_b32 exec_lo, exec_lo, s17
	s_add_co_i32 s24, s24, 0x10000
	s_delay_alu instid0(SALU_CYCLE_1)
	s_cmp_lt_u32 s24, s11
	s_cbranch_scc0 .LBB7_24
.LBB7_4:                                ; =>This Inner Loop Header: Depth=1
	s_and_b32 vcc_lo, exec_lo, s29
	s_mov_b32 s17, 0
	s_mov_b32 s16, 0
	s_mov_b32 s4, -1
	s_wait_alu 0xfffe
	s_cbranch_vccz .LBB7_6
; %bb.5:                                ;   in Loop: Header=BB7_4 Depth=1
	s_mov_b32 s4, 0
	s_mov_b32 s16, -1
	s_and_b32 s17, s18, exec_lo
.LBB7_6:                                ;   in Loop: Header=BB7_4 Depth=1
	s_wait_alu 0xfffe
	s_and_not1_b32 vcc_lo, exec_lo, s4
	s_wait_alu 0xfffe
	s_cbranch_vccnz .LBB7_8
; %bb.7:                                ;   in Loop: Header=BB7_4 Depth=1
	s_and_not1_b32 s4, s16, exec_lo
	s_and_b32 s5, s19, exec_lo
	s_and_not1_b32 s6, s17, exec_lo
	s_and_b32 s7, s27, exec_lo
	s_wait_alu 0xfffe
	s_or_b32 s16, s4, s5
	s_or_b32 s17, s6, s7
.LBB7_8:                                ;   in Loop: Header=BB7_4 Depth=1
	s_lshl_b64 s[4:5], s[24:25], 3
	s_wait_alu 0xfffe
	s_add_nc_u64 s[6:7], s[14:15], s[4:5]
	s_add_nc_u64 s[4:5], s[20:21], s[4:5]
	s_load_b64 s[6:7], s[6:7], 0x0
	s_load_b64 s[4:5], s[4:5], 0x0
	s_wait_kmcnt 0x0
	s_add_nc_u64 s[6:7], s[6:7], s[0:1]
	s_add_nc_u64 s[4:5], s[4:5], s[2:3]
	s_and_saveexec_b32 s22, s17
	s_delay_alu instid0(SALU_CYCLE_1)
	s_xor_b32 s17, exec_lo, s22
	s_cbranch_execz .LBB7_12
; %bb.9:                                ;   in Loop: Header=BB7_4 Depth=1
	s_and_saveexec_b32 s22, s26
	s_cbranch_execz .LBB7_11
; %bb.10:                               ;   in Loop: Header=BB7_4 Depth=1
	s_wait_alu 0xfffe
	v_add_co_u32 v0, vcc_lo, s6, v4
	s_wait_alu 0xfffd
	v_add_co_ci_u32_e64 v1, null, s7, v5, vcc_lo
	v_add_co_u32 v16, vcc_lo, s4, v10
	s_wait_alu 0xfffd
	v_add_co_ci_u32_e64 v17, null, s5, v11, vcc_lo
	flat_load_b128 v[12:15], v[0:1]
	v_mov_b32_e32 v3, v2
	flat_load_b64 v[0:1], v[16:17]
	s_wait_loadcnt_dscnt 0x101
	v_mul_f64_e32 v[14:15], v[14:15], v[14:15]
	s_delay_alu instid0(VALU_DEP_1) | instskip(SKIP_1) | instid1(VALU_DEP_1)
	v_fma_f64 v[12:13], v[12:13], v[12:13], v[14:15]
	s_wait_loadcnt_dscnt 0x0
	v_fma_f64 v[0:1], s[12:13], v[12:13], v[0:1]
	flat_store_b128 v[16:17], v[0:3]
.LBB7_11:                               ;   in Loop: Header=BB7_4 Depth=1
	s_or_b32 exec_lo, exec_lo, s22
	s_delay_alu instid0(SALU_CYCLE_1)
	s_and_not1_b32 s16, s16, exec_lo
.LBB7_12:                               ;   in Loop: Header=BB7_4 Depth=1
	s_or_b32 exec_lo, exec_lo, s17
	s_wait_alu 0xfffe
	v_add_co_u32 v12, vcc_lo, s6, v8
	s_wait_alu 0xfffd
	v_add_co_ci_u32_e64 v13, null, s7, v9, vcc_lo
	s_and_saveexec_b32 s17, s16
	s_cbranch_execz .LBB7_14
; %bb.13:                               ;   in Loop: Header=BB7_4 Depth=1
	v_add_co_u32 v0, vcc_lo, s6, v4
	s_wait_alu 0xfffd
	v_add_co_ci_u32_e64 v1, null, s7, v5, vcc_lo
	s_clause 0x1
	flat_load_b128 v[14:17], v[0:1]
	flat_load_b128 v[18:21], v[12:13]
	v_add_co_u32 v0, vcc_lo, s4, v10
	s_wait_alu 0xfffd
	v_add_co_ci_u32_e64 v1, null, s5, v11, vcc_lo
	flat_load_b128 v[22:25], v[0:1]
	s_wait_loadcnt_dscnt 0x202
	v_mul_f64_e32 v[16:17], s[12:13], v[16:17]
	v_mul_f64_e32 v[14:15], s[12:13], v[14:15]
	s_wait_loadcnt_dscnt 0x101
	s_delay_alu instid0(VALU_DEP_2) | instskip(NEXT) | instid1(VALU_DEP_2)
	v_mul_f64_e32 v[26:27], v[16:17], v[20:21]
	v_mul_f64_e32 v[20:21], v[14:15], v[20:21]
	s_delay_alu instid0(VALU_DEP_2) | instskip(NEXT) | instid1(VALU_DEP_2)
	v_fma_f64 v[14:15], v[14:15], v[18:19], v[26:27]
	v_fma_f64 v[16:17], v[18:19], v[16:17], -v[20:21]
	s_wait_loadcnt_dscnt 0x0
	s_delay_alu instid0(VALU_DEP_2) | instskip(NEXT) | instid1(VALU_DEP_2)
	v_add_f64_e32 v[14:15], v[22:23], v[14:15]
	v_add_f64_e32 v[16:17], v[16:17], v[24:25]
	flat_store_b128 v[0:1], v[14:17]
.LBB7_14:                               ;   in Loop: Header=BB7_4 Depth=1
	s_or_b32 exec_lo, exec_lo, s17
	s_delay_alu instid0(SALU_CYCLE_1)
	s_and_not1_b32 vcc_lo, exec_lo, s29
	s_wait_alu 0xfffe
	s_cbranch_vccnz .LBB7_19
; %bb.15:                               ;   in Loop: Header=BB7_4 Depth=1
	s_and_b32 s16, s8, exec_lo
	s_and_b32 s22, s28, exec_lo
	s_cbranch_execnz .LBB7_17
.LBB7_16:                               ;   in Loop: Header=BB7_4 Depth=1
	s_and_not1_b32 s17, s22, exec_lo
	s_and_b32 s22, s9, exec_lo
	s_or_b32 s16, s16, exec_lo
	s_or_b32 s22, s17, s22
.LBB7_17:                               ;   in Loop: Header=BB7_4 Depth=1
	s_delay_alu instid0(SALU_CYCLE_1)
	s_and_saveexec_b32 s17, s22
	s_cbranch_execnz .LBB7_20
; %bb.18:                               ;   in Loop: Header=BB7_4 Depth=1
	s_or_b32 exec_lo, exec_lo, s17
	s_and_saveexec_b32 s17, s16
	s_cbranch_execz .LBB7_3
	s_branch .LBB7_23
.LBB7_19:                               ;   in Loop: Header=BB7_4 Depth=1
	s_mov_b32 s22, 0
	s_mov_b32 s16, 0
	s_branch .LBB7_16
.LBB7_20:                               ;   in Loop: Header=BB7_4 Depth=1
	s_and_saveexec_b32 s22, s10
	s_cbranch_execz .LBB7_22
; %bb.21:                               ;   in Loop: Header=BB7_4 Depth=1
	flat_load_b128 v[14:17], v[12:13]
	v_add_co_u32 v18, vcc_lo, s4, v10
	s_wait_alu 0xfffd
	v_add_co_ci_u32_e64 v19, null, s5, v11, vcc_lo
	v_mov_b32_e32 v3, v2
	flat_load_b64 v[0:1], v[18:19] offset:1024
	s_wait_loadcnt_dscnt 0x101
	v_mul_f64_e32 v[16:17], v[16:17], v[16:17]
	s_delay_alu instid0(VALU_DEP_1) | instskip(SKIP_1) | instid1(VALU_DEP_1)
	v_fma_f64 v[14:15], v[14:15], v[14:15], v[16:17]
	s_wait_loadcnt_dscnt 0x0
	v_fma_f64 v[0:1], s[12:13], v[14:15], v[0:1]
	flat_store_b128 v[18:19], v[0:3] offset:1024
.LBB7_22:                               ;   in Loop: Header=BB7_4 Depth=1
	s_or_b32 exec_lo, exec_lo, s22
	s_delay_alu instid0(SALU_CYCLE_1)
	s_and_not1_b32 s16, s16, exec_lo
	s_or_b32 exec_lo, exec_lo, s17
	s_and_saveexec_b32 s17, s16
	s_cbranch_execz .LBB7_3
.LBB7_23:                               ;   in Loop: Header=BB7_4 Depth=1
	v_add_co_u32 v0, vcc_lo, s6, v6
	s_wait_alu 0xfffd
	v_add_co_ci_u32_e64 v1, null, s7, v7, vcc_lo
	s_clause 0x1
	flat_load_b128 v[14:17], v[0:1]
	flat_load_b128 v[18:21], v[12:13]
	v_add_co_u32 v0, vcc_lo, s4, v10
	s_wait_alu 0xfffd
	v_add_co_ci_u32_e64 v1, null, s5, v11, vcc_lo
	flat_load_b128 v[22:25], v[0:1] offset:1024
	s_wait_loadcnt_dscnt 0x202
	v_mul_f64_e32 v[12:13], s[12:13], v[16:17]
	v_mul_f64_e32 v[14:15], s[12:13], v[14:15]
	s_wait_loadcnt_dscnt 0x101
	s_delay_alu instid0(VALU_DEP_2) | instskip(NEXT) | instid1(VALU_DEP_2)
	v_mul_f64_e32 v[16:17], v[12:13], v[20:21]
	v_mul_f64_e32 v[20:21], v[14:15], v[20:21]
	s_delay_alu instid0(VALU_DEP_2) | instskip(NEXT) | instid1(VALU_DEP_2)
	v_fma_f64 v[14:15], v[14:15], v[18:19], v[16:17]
	v_fma_f64 v[16:17], v[18:19], v[12:13], -v[20:21]
	s_wait_loadcnt_dscnt 0x0
	s_delay_alu instid0(VALU_DEP_2) | instskip(NEXT) | instid1(VALU_DEP_2)
	v_add_f64_e32 v[12:13], v[22:23], v[14:15]
	v_add_f64_e32 v[14:15], v[16:17], v[24:25]
	flat_store_b128 v[0:1], v[12:15] offset:1024
	s_branch .LBB7_3
.LBB7_24:
	s_endpgm
	.section	.rodata,"a",@progbits
	.p2align	6, 0x0
	.amdhsa_kernel _ZL18rocblas_hpr_kernelILi64ELi16ELi2EdPKPK19rocblas_complex_numIdEPKPS1_EvbiT2_T3_lllT4_lli
		.amdhsa_group_segment_fixed_size 0
		.amdhsa_private_segment_fixed_size 0
		.amdhsa_kernarg_size 76
		.amdhsa_user_sgpr_count 2
		.amdhsa_user_sgpr_dispatch_ptr 0
		.amdhsa_user_sgpr_queue_ptr 0
		.amdhsa_user_sgpr_kernarg_segment_ptr 1
		.amdhsa_user_sgpr_dispatch_id 0
		.amdhsa_user_sgpr_private_segment_size 0
		.amdhsa_wavefront_size32 1
		.amdhsa_uses_dynamic_stack 0
		.amdhsa_enable_private_segment 0
		.amdhsa_system_sgpr_workgroup_id_x 1
		.amdhsa_system_sgpr_workgroup_id_y 1
		.amdhsa_system_sgpr_workgroup_id_z 1
		.amdhsa_system_sgpr_workgroup_info 0
		.amdhsa_system_vgpr_workitem_id 1
		.amdhsa_next_free_vgpr 28
		.amdhsa_next_free_sgpr 30
		.amdhsa_reserve_vcc 1
		.amdhsa_float_round_mode_32 0
		.amdhsa_float_round_mode_16_64 0
		.amdhsa_float_denorm_mode_32 3
		.amdhsa_float_denorm_mode_16_64 3
		.amdhsa_fp16_overflow 0
		.amdhsa_workgroup_processor_mode 1
		.amdhsa_memory_ordered 1
		.amdhsa_forward_progress 1
		.amdhsa_inst_pref_size 11
		.amdhsa_round_robin_scheduling 0
		.amdhsa_exception_fp_ieee_invalid_op 0
		.amdhsa_exception_fp_denorm_src 0
		.amdhsa_exception_fp_ieee_div_zero 0
		.amdhsa_exception_fp_ieee_overflow 0
		.amdhsa_exception_fp_ieee_underflow 0
		.amdhsa_exception_fp_ieee_inexact 0
		.amdhsa_exception_int_div_zero 0
	.end_amdhsa_kernel
	.section	.text._ZL18rocblas_hpr_kernelILi64ELi16ELi2EdPKPK19rocblas_complex_numIdEPKPS1_EvbiT2_T3_lllT4_lli,"axG",@progbits,_ZL18rocblas_hpr_kernelILi64ELi16ELi2EdPKPK19rocblas_complex_numIdEPKPS1_EvbiT2_T3_lllT4_lli,comdat
.Lfunc_end7:
	.size	_ZL18rocblas_hpr_kernelILi64ELi16ELi2EdPKPK19rocblas_complex_numIdEPKPS1_EvbiT2_T3_lllT4_lli, .Lfunc_end7-_ZL18rocblas_hpr_kernelILi64ELi16ELi2EdPKPK19rocblas_complex_numIdEPKPS1_EvbiT2_T3_lllT4_lli
                                        ; -- End function
	.set _ZL18rocblas_hpr_kernelILi64ELi16ELi2EdPKPK19rocblas_complex_numIdEPKPS1_EvbiT2_T3_lllT4_lli.num_vgpr, 28
	.set _ZL18rocblas_hpr_kernelILi64ELi16ELi2EdPKPK19rocblas_complex_numIdEPKPS1_EvbiT2_T3_lllT4_lli.num_agpr, 0
	.set _ZL18rocblas_hpr_kernelILi64ELi16ELi2EdPKPK19rocblas_complex_numIdEPKPS1_EvbiT2_T3_lllT4_lli.numbered_sgpr, 30
	.set _ZL18rocblas_hpr_kernelILi64ELi16ELi2EdPKPK19rocblas_complex_numIdEPKPS1_EvbiT2_T3_lllT4_lli.num_named_barrier, 0
	.set _ZL18rocblas_hpr_kernelILi64ELi16ELi2EdPKPK19rocblas_complex_numIdEPKPS1_EvbiT2_T3_lllT4_lli.private_seg_size, 0
	.set _ZL18rocblas_hpr_kernelILi64ELi16ELi2EdPKPK19rocblas_complex_numIdEPKPS1_EvbiT2_T3_lllT4_lli.uses_vcc, 1
	.set _ZL18rocblas_hpr_kernelILi64ELi16ELi2EdPKPK19rocblas_complex_numIdEPKPS1_EvbiT2_T3_lllT4_lli.uses_flat_scratch, 1
	.set _ZL18rocblas_hpr_kernelILi64ELi16ELi2EdPKPK19rocblas_complex_numIdEPKPS1_EvbiT2_T3_lllT4_lli.has_dyn_sized_stack, 0
	.set _ZL18rocblas_hpr_kernelILi64ELi16ELi2EdPKPK19rocblas_complex_numIdEPKPS1_EvbiT2_T3_lllT4_lli.has_recursion, 0
	.set _ZL18rocblas_hpr_kernelILi64ELi16ELi2EdPKPK19rocblas_complex_numIdEPKPS1_EvbiT2_T3_lllT4_lli.has_indirect_call, 0
	.section	.AMDGPU.csdata,"",@progbits
; Kernel info:
; codeLenInByte = 1356
; TotalNumSgprs: 32
; NumVgprs: 28
; ScratchSize: 0
; MemoryBound: 0
; FloatMode: 240
; IeeeMode: 1
; LDSByteSize: 0 bytes/workgroup (compile time only)
; SGPRBlocks: 0
; VGPRBlocks: 3
; NumSGPRsForWavesPerEU: 32
; NumVGPRsForWavesPerEU: 28
; Occupancy: 16
; WaveLimiterHint : 1
; COMPUTE_PGM_RSRC2:SCRATCH_EN: 0
; COMPUTE_PGM_RSRC2:USER_SGPR: 2
; COMPUTE_PGM_RSRC2:TRAP_HANDLER: 0
; COMPUTE_PGM_RSRC2:TGID_X_EN: 1
; COMPUTE_PGM_RSRC2:TGID_Y_EN: 1
; COMPUTE_PGM_RSRC2:TGID_Z_EN: 1
; COMPUTE_PGM_RSRC2:TIDIG_COMP_CNT: 1
	.section	.AMDGPU.gpr_maximums,"",@progbits
	.set amdgpu.max_num_vgpr, 0
	.set amdgpu.max_num_agpr, 0
	.set amdgpu.max_num_sgpr, 0
	.section	.AMDGPU.csdata,"",@progbits
	.type	__hip_cuid_581362baeaae8c3d,@object ; @__hip_cuid_581362baeaae8c3d
	.section	.bss,"aw",@nobits
	.globl	__hip_cuid_581362baeaae8c3d
__hip_cuid_581362baeaae8c3d:
	.byte	0                               ; 0x0
	.size	__hip_cuid_581362baeaae8c3d, 1

	.ident	"AMD clang version 22.0.0git (https://github.com/RadeonOpenCompute/llvm-project roc-7.2.4 26084 f58b06dce1f9c15707c5f808fd002e18c2accf7e)"
	.section	".note.GNU-stack","",@progbits
	.addrsig
	.addrsig_sym __hip_cuid_581362baeaae8c3d
	.amdgpu_metadata
---
amdhsa.kernels:
  - .args:
      - .offset:         0
        .size:           1
        .value_kind:     by_value
      - .offset:         4
        .size:           4
        .value_kind:     by_value
      - .address_space:  global
        .offset:         8
        .size:           8
        .value_kind:     global_buffer
      - .address_space:  global
        .offset:         16
        .size:           8
        .value_kind:     global_buffer
      - .offset:         24
        .size:           8
        .value_kind:     by_value
      - .offset:         32
        .size:           8
        .value_kind:     by_value
      - .offset:         40
        .size:           8
        .value_kind:     by_value
      - .address_space:  global
        .offset:         48
        .size:           8
        .value_kind:     global_buffer
      - .offset:         56
        .size:           8
        .value_kind:     by_value
      - .offset:         64
        .size:           8
        .value_kind:     by_value
      - .offset:         72
        .size:           4
        .value_kind:     by_value
    .group_segment_fixed_size: 0
    .kernarg_segment_align: 8
    .kernarg_segment_size: 76
    .language:       OpenCL C
    .language_version:
      - 2
      - 0
    .max_flat_workgroup_size: 1024
    .name:           _ZL18rocblas_hpr_kernelILi64ELi16ELi2EPKfPK19rocblas_complex_numIfEPS3_EvbiT2_T3_lllT4_lli
    .private_segment_fixed_size: 0
    .sgpr_count:     32
    .sgpr_spill_count: 0
    .symbol:         _ZL18rocblas_hpr_kernelILi64ELi16ELi2EPKfPK19rocblas_complex_numIfEPS3_EvbiT2_T3_lllT4_lli.kd
    .uniform_work_group_size: 1
    .uses_dynamic_stack: false
    .vgpr_count:     20
    .vgpr_spill_count: 0
    .wavefront_size: 32
    .workgroup_processor_mode: 1
  - .args:
      - .offset:         0
        .size:           1
        .value_kind:     by_value
      - .offset:         4
        .size:           4
        .value_kind:     by_value
      - .offset:         8
        .size:           4
        .value_kind:     by_value
      - .address_space:  global
        .offset:         16
        .size:           8
        .value_kind:     global_buffer
      - .offset:         24
        .size:           8
        .value_kind:     by_value
      - .offset:         32
        .size:           8
        .value_kind:     by_value
      - .offset:         40
        .size:           8
        .value_kind:     by_value
      - .address_space:  global
        .offset:         48
        .size:           8
        .value_kind:     global_buffer
      - .offset:         56
        .size:           8
        .value_kind:     by_value
      - .offset:         64
        .size:           8
        .value_kind:     by_value
      - .offset:         72
        .size:           4
        .value_kind:     by_value
    .group_segment_fixed_size: 0
    .kernarg_segment_align: 8
    .kernarg_segment_size: 76
    .language:       OpenCL C
    .language_version:
      - 2
      - 0
    .max_flat_workgroup_size: 1024
    .name:           _ZL18rocblas_hpr_kernelILi64ELi16ELi2EfPK19rocblas_complex_numIfEPS1_EvbiT2_T3_lllT4_lli
    .private_segment_fixed_size: 0
    .sgpr_count:     32
    .sgpr_spill_count: 0
    .symbol:         _ZL18rocblas_hpr_kernelILi64ELi16ELi2EfPK19rocblas_complex_numIfEPS1_EvbiT2_T3_lllT4_lli.kd
    .uniform_work_group_size: 1
    .uses_dynamic_stack: false
    .vgpr_count:     20
    .vgpr_spill_count: 0
    .wavefront_size: 32
    .workgroup_processor_mode: 1
  - .args:
      - .offset:         0
        .size:           1
        .value_kind:     by_value
      - .offset:         4
        .size:           4
        .value_kind:     by_value
      - .address_space:  global
        .offset:         8
        .size:           8
        .value_kind:     global_buffer
      - .address_space:  global
        .offset:         16
        .size:           8
        .value_kind:     global_buffer
      - .offset:         24
        .size:           8
        .value_kind:     by_value
      - .offset:         32
        .size:           8
        .value_kind:     by_value
      - .offset:         40
        .size:           8
        .value_kind:     by_value
      - .address_space:  global
        .offset:         48
        .size:           8
        .value_kind:     global_buffer
      - .offset:         56
        .size:           8
        .value_kind:     by_value
      - .offset:         64
        .size:           8
        .value_kind:     by_value
      - .offset:         72
        .size:           4
        .value_kind:     by_value
    .group_segment_fixed_size: 0
    .kernarg_segment_align: 8
    .kernarg_segment_size: 76
    .language:       OpenCL C
    .language_version:
      - 2
      - 0
    .max_flat_workgroup_size: 1024
    .name:           _ZL18rocblas_hpr_kernelILi64ELi16ELi2EPKdPK19rocblas_complex_numIdEPS3_EvbiT2_T3_lllT4_lli
    .private_segment_fixed_size: 0
    .sgpr_count:     32
    .sgpr_spill_count: 0
    .symbol:         _ZL18rocblas_hpr_kernelILi64ELi16ELi2EPKdPK19rocblas_complex_numIdEPS3_EvbiT2_T3_lllT4_lli.kd
    .uniform_work_group_size: 1
    .uses_dynamic_stack: false
    .vgpr_count:     28
    .vgpr_spill_count: 0
    .wavefront_size: 32
    .workgroup_processor_mode: 1
  - .args:
      - .offset:         0
        .size:           1
        .value_kind:     by_value
      - .offset:         4
        .size:           4
        .value_kind:     by_value
      - .offset:         8
        .size:           8
        .value_kind:     by_value
      - .address_space:  global
        .offset:         16
        .size:           8
        .value_kind:     global_buffer
      - .offset:         24
        .size:           8
        .value_kind:     by_value
      - .offset:         32
        .size:           8
        .value_kind:     by_value
      - .offset:         40
        .size:           8
        .value_kind:     by_value
      - .address_space:  global
        .offset:         48
        .size:           8
        .value_kind:     global_buffer
      - .offset:         56
        .size:           8
        .value_kind:     by_value
      - .offset:         64
        .size:           8
        .value_kind:     by_value
      - .offset:         72
        .size:           4
        .value_kind:     by_value
    .group_segment_fixed_size: 0
    .kernarg_segment_align: 8
    .kernarg_segment_size: 76
    .language:       OpenCL C
    .language_version:
      - 2
      - 0
    .max_flat_workgroup_size: 1024
    .name:           _ZL18rocblas_hpr_kernelILi64ELi16ELi2EdPK19rocblas_complex_numIdEPS1_EvbiT2_T3_lllT4_lli
    .private_segment_fixed_size: 0
    .sgpr_count:     32
    .sgpr_spill_count: 0
    .symbol:         _ZL18rocblas_hpr_kernelILi64ELi16ELi2EdPK19rocblas_complex_numIdEPS1_EvbiT2_T3_lllT4_lli.kd
    .uniform_work_group_size: 1
    .uses_dynamic_stack: false
    .vgpr_count:     28
    .vgpr_spill_count: 0
    .wavefront_size: 32
    .workgroup_processor_mode: 1
  - .args:
      - .offset:         0
        .size:           1
        .value_kind:     by_value
      - .offset:         4
        .size:           4
        .value_kind:     by_value
      - .address_space:  global
        .offset:         8
        .size:           8
        .value_kind:     global_buffer
      - .address_space:  global
        .offset:         16
        .size:           8
        .value_kind:     global_buffer
      - .offset:         24
        .size:           8
        .value_kind:     by_value
      - .offset:         32
        .size:           8
        .value_kind:     by_value
      - .offset:         40
        .size:           8
        .value_kind:     by_value
      - .address_space:  global
        .offset:         48
        .size:           8
        .value_kind:     global_buffer
      - .offset:         56
        .size:           8
        .value_kind:     by_value
      - .offset:         64
        .size:           8
        .value_kind:     by_value
      - .offset:         72
        .size:           4
        .value_kind:     by_value
    .group_segment_fixed_size: 0
    .kernarg_segment_align: 8
    .kernarg_segment_size: 76
    .language:       OpenCL C
    .language_version:
      - 2
      - 0
    .max_flat_workgroup_size: 1024
    .name:           _ZL18rocblas_hpr_kernelILi64ELi16ELi2EPKfPKPK19rocblas_complex_numIfEPKPS3_EvbiT2_T3_lllT4_lli
    .private_segment_fixed_size: 0
    .sgpr_count:     27
    .sgpr_spill_count: 0
    .symbol:         _ZL18rocblas_hpr_kernelILi64ELi16ELi2EPKfPKPK19rocblas_complex_numIfEPKPS3_EvbiT2_T3_lllT4_lli.kd
    .uniform_work_group_size: 1
    .uses_dynamic_stack: false
    .vgpr_count:     24
    .vgpr_spill_count: 0
    .wavefront_size: 32
    .workgroup_processor_mode: 1
  - .args:
      - .offset:         0
        .size:           1
        .value_kind:     by_value
      - .offset:         4
        .size:           4
        .value_kind:     by_value
      - .offset:         8
        .size:           4
        .value_kind:     by_value
      - .address_space:  global
        .offset:         16
        .size:           8
        .value_kind:     global_buffer
      - .offset:         24
        .size:           8
        .value_kind:     by_value
      - .offset:         32
        .size:           8
        .value_kind:     by_value
      - .offset:         40
        .size:           8
        .value_kind:     by_value
      - .address_space:  global
        .offset:         48
        .size:           8
        .value_kind:     global_buffer
      - .offset:         56
        .size:           8
        .value_kind:     by_value
      - .offset:         64
        .size:           8
        .value_kind:     by_value
      - .offset:         72
        .size:           4
        .value_kind:     by_value
    .group_segment_fixed_size: 0
    .kernarg_segment_align: 8
    .kernarg_segment_size: 76
    .language:       OpenCL C
    .language_version:
      - 2
      - 0
    .max_flat_workgroup_size: 1024
    .name:           _ZL18rocblas_hpr_kernelILi64ELi16ELi2EfPKPK19rocblas_complex_numIfEPKPS1_EvbiT2_T3_lllT4_lli
    .private_segment_fixed_size: 0
    .sgpr_count:     27
    .sgpr_spill_count: 0
    .symbol:         _ZL18rocblas_hpr_kernelILi64ELi16ELi2EfPKPK19rocblas_complex_numIfEPKPS1_EvbiT2_T3_lllT4_lli.kd
    .uniform_work_group_size: 1
    .uses_dynamic_stack: false
    .vgpr_count:     24
    .vgpr_spill_count: 0
    .wavefront_size: 32
    .workgroup_processor_mode: 1
  - .args:
      - .offset:         0
        .size:           1
        .value_kind:     by_value
      - .offset:         4
        .size:           4
        .value_kind:     by_value
      - .address_space:  global
        .offset:         8
        .size:           8
        .value_kind:     global_buffer
      - .address_space:  global
        .offset:         16
        .size:           8
        .value_kind:     global_buffer
      - .offset:         24
        .size:           8
        .value_kind:     by_value
      - .offset:         32
        .size:           8
        .value_kind:     by_value
      - .offset:         40
        .size:           8
        .value_kind:     by_value
      - .address_space:  global
        .offset:         48
        .size:           8
        .value_kind:     global_buffer
      - .offset:         56
        .size:           8
        .value_kind:     by_value
      - .offset:         64
        .size:           8
        .value_kind:     by_value
      - .offset:         72
        .size:           4
        .value_kind:     by_value
    .group_segment_fixed_size: 0
    .kernarg_segment_align: 8
    .kernarg_segment_size: 76
    .language:       OpenCL C
    .language_version:
      - 2
      - 0
    .max_flat_workgroup_size: 1024
    .name:           _ZL18rocblas_hpr_kernelILi64ELi16ELi2EPKdPKPK19rocblas_complex_numIdEPKPS3_EvbiT2_T3_lllT4_lli
    .private_segment_fixed_size: 0
    .sgpr_count:     32
    .sgpr_spill_count: 0
    .symbol:         _ZL18rocblas_hpr_kernelILi64ELi16ELi2EPKdPKPK19rocblas_complex_numIdEPKPS3_EvbiT2_T3_lllT4_lli.kd
    .uniform_work_group_size: 1
    .uses_dynamic_stack: false
    .vgpr_count:     28
    .vgpr_spill_count: 0
    .wavefront_size: 32
    .workgroup_processor_mode: 1
  - .args:
      - .offset:         0
        .size:           1
        .value_kind:     by_value
      - .offset:         4
        .size:           4
        .value_kind:     by_value
      - .offset:         8
        .size:           8
        .value_kind:     by_value
      - .address_space:  global
        .offset:         16
        .size:           8
        .value_kind:     global_buffer
      - .offset:         24
        .size:           8
        .value_kind:     by_value
      - .offset:         32
        .size:           8
        .value_kind:     by_value
      - .offset:         40
        .size:           8
        .value_kind:     by_value
      - .address_space:  global
        .offset:         48
        .size:           8
        .value_kind:     global_buffer
      - .offset:         56
        .size:           8
        .value_kind:     by_value
      - .offset:         64
        .size:           8
        .value_kind:     by_value
      - .offset:         72
        .size:           4
        .value_kind:     by_value
    .group_segment_fixed_size: 0
    .kernarg_segment_align: 8
    .kernarg_segment_size: 76
    .language:       OpenCL C
    .language_version:
      - 2
      - 0
    .max_flat_workgroup_size: 1024
    .name:           _ZL18rocblas_hpr_kernelILi64ELi16ELi2EdPKPK19rocblas_complex_numIdEPKPS1_EvbiT2_T3_lllT4_lli
    .private_segment_fixed_size: 0
    .sgpr_count:     32
    .sgpr_spill_count: 0
    .symbol:         _ZL18rocblas_hpr_kernelILi64ELi16ELi2EdPKPK19rocblas_complex_numIdEPKPS1_EvbiT2_T3_lllT4_lli.kd
    .uniform_work_group_size: 1
    .uses_dynamic_stack: false
    .vgpr_count:     28
    .vgpr_spill_count: 0
    .wavefront_size: 32
    .workgroup_processor_mode: 1
amdhsa.target:   amdgcn-amd-amdhsa--gfx1201
amdhsa.version:
  - 1
  - 2
...

	.end_amdgpu_metadata
